;; amdgpu-corpus repo=ROCm/rocFFT kind=compiled arch=gfx1201 opt=O3
	.text
	.amdgcn_target "amdgcn-amd-amdhsa--gfx1201"
	.amdhsa_code_object_version 6
	.protected	bluestein_single_fwd_len3840_dim1_dp_op_CI_CI ; -- Begin function bluestein_single_fwd_len3840_dim1_dp_op_CI_CI
	.globl	bluestein_single_fwd_len3840_dim1_dp_op_CI_CI
	.p2align	8
	.type	bluestein_single_fwd_len3840_dim1_dp_op_CI_CI,@function
bluestein_single_fwd_len3840_dim1_dp_op_CI_CI: ; @bluestein_single_fwd_len3840_dim1_dp_op_CI_CI
; %bb.0:
	s_load_b128 s[16:19], s[0:1], 0x28
	v_mov_b32_e32 v255, v0
	s_mov_b32 s2, ttmp9
	s_mov_b32 s3, 0
	s_mov_b32 s5, exec_lo
	s_wait_kmcnt 0x0
	v_cmpx_lt_u64_e64 s[2:3], s[16:17]
	s_cbranch_execz .LBB0_2
; %bb.1:
	s_clause 0x1
	s_load_b128 s[4:7], s[0:1], 0x18
	s_load_b128 s[8:11], s[0:1], 0x0
	v_dual_mov_b32 v5, s3 :: v_dual_mov_b32 v4, s2
	v_lshlrev_b32_e32 v253, 4, v255
	s_mov_b32 s16, 0x134454ff
	s_mov_b32 s17, 0x3fee6f0e
	;; [unrolled: 1-line block ×3, first 2 shown]
	scratch_store_b64 off, v[4:5], off      ; 8-byte Folded Spill
	s_mov_b32 s21, 0x3fe9e377
	s_mov_b32 s25, 0xbfe9e377
	s_mov_b32 s24, s20
	s_mov_b32 s23, 0xbfd3c6ef
	s_mov_b32 s29, 0xbfebb67a
	s_load_b64 s[0:1], s[0:1], 0x38
	s_wait_kmcnt 0x0
	s_load_b128 s[12:15], s[4:5], 0x0
	global_load_b128 v[47:50], v253, s[8:9]
	s_wait_kmcnt 0x0
	v_mad_co_u64_u32 v[0:1], null, s14, v4, 0
	v_mad_co_u64_u32 v[2:3], null, s12, v255, 0
	s_mul_i32 s4, s13, 0xffff3000
	s_mul_u64 s[2:3], s[12:13], 0x1800
	s_sub_co_i32 s4, s4, s12
	s_delay_alu instid0(VALU_DEP_1) | instskip(SKIP_1) | instid1(VALU_DEP_1)
	v_mad_co_u64_u32 v[4:5], null, s15, v4, v[1:2]
	s_mov_b32 s15, 0xbfe2cf23
	v_mad_co_u64_u32 v[5:6], null, s13, v255, v[3:4]
	v_mov_b32_e32 v1, v4
	s_delay_alu instid0(VALU_DEP_1) | instskip(NEXT) | instid1(VALU_DEP_3)
	v_lshlrev_b64_e32 v[0:1], 4, v[0:1]
	v_mov_b32_e32 v3, v5
	s_delay_alu instid0(VALU_DEP_2) | instskip(NEXT) | instid1(VALU_DEP_2)
	v_add_co_u32 v0, vcc_lo, s18, v0
	v_lshlrev_b64_e32 v[2:3], 4, v[2:3]
	s_delay_alu instid0(VALU_DEP_4) | instskip(SKIP_2) | instid1(VALU_DEP_2)
	v_add_co_ci_u32_e32 v1, vcc_lo, s19, v1, vcc_lo
	s_mov_b32 s19, 0xbfee6f0e
	s_mov_b32 s18, s16
	v_add_co_u32 v0, vcc_lo, v0, v2
	s_wait_alu 0xfffd
	v_add_co_ci_u32_e32 v1, vcc_lo, v1, v3, vcc_lo
	s_wait_alu 0xfffe
	s_delay_alu instid0(VALU_DEP_2) | instskip(SKIP_1) | instid1(VALU_DEP_2)
	v_add_co_u32 v5, vcc_lo, v0, s2
	s_wait_alu 0xfffd
	v_add_co_ci_u32_e32 v6, vcc_lo, s3, v1, vcc_lo
	global_load_b128 v[1:4], v[0:1], off
	v_add_co_u32 v13, vcc_lo, v5, s2
	s_wait_alu 0xfffd
	v_add_co_ci_u32_e32 v14, vcc_lo, s3, v6, vcc_lo
	global_load_b128 v[61:64], v253, s[8:9] offset:6144
	global_load_b128 v[5:8], v[5:6], off
	global_load_b128 v[65:68], v253, s[8:9] offset:12288
	global_load_b128 v[9:12], v[13:14], off
	v_add_co_u32 v17, vcc_lo, v13, s2
	s_wait_alu 0xfffd
	v_add_co_ci_u32_e32 v18, vcc_lo, s3, v14, vcc_lo
	global_load_b128 v[69:72], v253, s[8:9] offset:18432
	global_load_b128 v[13:16], v[17:18], off
	v_add_co_u32 v21, vcc_lo, v17, s2
	s_wait_alu 0xfffd
	v_add_co_ci_u32_e32 v22, vcc_lo, s3, v18, vcc_lo
	;; [unrolled: 5-line block ×7, first 2 shown]
	global_load_b128 v[93:96], v253, s[8:9] offset:55296
	global_load_b128 v[37:40], v[41:42], off
	v_mad_co_u64_u32 v[45:46], null, 0xffff3000, s12, v[41:42]
	v_mul_u32_u24_e32 v0, 10, v255
	s_delay_alu instid0(VALU_DEP_1) | instskip(NEXT) | instid1(VALU_DEP_3)
	v_lshlrev_b32_e32 v254, 4, v0
	v_add_nc_u32_e32 v46, s4, v46
	s_delay_alu instid0(VALU_DEP_4) | instskip(SKIP_1) | instid1(VALU_DEP_2)
	v_add_co_u32 v59, vcc_lo, v45, s2
	s_wait_alu 0xfffd
	v_add_co_ci_u32_e32 v60, vcc_lo, s3, v46, vcc_lo
	s_wait_loadcnt 0x13
	v_dual_mov_b32 v41, v47 :: v_dual_mov_b32 v44, v50
	v_dual_mov_b32 v42, v48 :: v_dual_mov_b32 v43, v49
	s_clause 0x1
	global_load_b128 v[97:100], v253, s[8:9] offset:2048
	global_load_b128 v[107:110], v253, s[8:9] offset:28672
	v_mov_b32_e32 v104, v44
	v_dual_mov_b32 v102, v42 :: v_dual_mov_b32 v101, v41
	v_mov_b32_e32 v103, v43
	s_clause 0x3
	global_load_b128 v[111:114], v253, s[8:9] offset:34816
	global_load_b128 v[115:118], v253, s[8:9] offset:40960
	;; [unrolled: 1-line block ×4, first 2 shown]
	scratch_store_b128 off, v[101:104], off offset:8 ; 16-byte Folded Spill
	s_wait_loadcnt 0x18
	v_mul_f64_e32 v[47:48], v[3:4], v[43:44]
	v_mul_f64_e32 v[49:50], v[1:2], v[43:44]
	global_load_b128 v[41:44], v[45:46], off
	s_wait_loadcnt 0x17
	v_mul_f64_e32 v[51:52], v[7:8], v[63:64]
	v_mul_f64_e32 v[53:54], v[5:6], v[63:64]
	scratch_store_b128 off, v[61:64], off offset:184 ; 16-byte Folded Spill
	s_wait_loadcnt 0x15
	v_mul_f64_e32 v[57:58], v[9:10], v[67:68]
	v_mul_f64_e32 v[55:56], v[11:12], v[67:68]
	scratch_store_b128 off, v[65:68], off offset:168 ; 16-byte Folded Spill
	s_wait_loadcnt 0x14
	scratch_store_b128 off, v[69:72], off offset:152 ; 16-byte Folded Spill
	s_wait_loadcnt 0x12
	;; [unrolled: 2-line block ×4, first 2 shown]
	scratch_store_b128 off, v[81:84], off offset:104 ; 16-byte Folded Spill
	v_fma_f64 v[1:2], v[1:2], v[101:102], v[47:48]
	s_wait_loadcnt 0xc
	scratch_store_b128 off, v[85:88], off offset:88 ; 16-byte Folded Spill
	v_fma_f64 v[3:4], v[3:4], v[101:102], -v[49:50]
	global_load_b128 v[101:104], v253, s[8:9] offset:8192
	global_load_b128 v[45:48], v[59:60], off
	v_fma_f64 v[5:6], v[5:6], v[61:62], v[51:52]
	v_mul_f64_e32 v[49:50], v[15:16], v[71:72]
	v_mul_f64_e32 v[51:52], v[13:14], v[71:72]
	v_fma_f64 v[7:8], v[7:8], v[61:62], -v[53:54]
	v_add_co_u32 v53, vcc_lo, v59, s2
	s_wait_alu 0xfffd
	v_add_co_ci_u32_e32 v54, vcc_lo, s3, v60, vcc_lo
	global_load_b128 v[59:62], v253, s[8:9] offset:14336
	v_fma_f64 v[11:12], v[11:12], v[65:66], -v[57:58]
	v_fma_f64 v[9:10], v[9:10], v[65:66], v[55:56]
	global_load_b128 v[63:66], v253, s[8:9] offset:20480
	s_wait_loadcnt 0xe
	scratch_store_b128 off, v[89:92], off offset:72 ; 16-byte Folded Spill
	s_wait_loadcnt 0xc
	scratch_store_b128 off, v[93:96], off offset:40 ; 16-byte Folded Spill
	v_fma_f64 v[13:14], v[13:14], v[69:70], v[49:50]
	v_fma_f64 v[15:16], v[15:16], v[69:70], -v[51:52]
	v_mul_f64_e32 v[49:50], v[19:20], v[75:76]
	v_mul_f64_e32 v[51:52], v[17:18], v[75:76]
	global_load_b128 v[67:70], v253, s[8:9] offset:26624
	v_fma_f64 v[17:18], v[17:18], v[73:74], v[49:50]
	v_fma_f64 v[19:20], v[19:20], v[73:74], -v[51:52]
	v_mul_f64_e32 v[49:50], v[23:24], v[79:80]
	v_mul_f64_e32 v[51:52], v[21:22], v[79:80]
	global_load_b128 v[71:74], v253, s[8:9] offset:32768
	;; [unrolled: 5-line block ×5, first 2 shown]
	s_wait_loadcnt 0xf
	scratch_store_b128 off, v[97:100], off offset:24 ; 16-byte Folded Spill
	s_wait_loadcnt 0xe
	scratch_store_b128 off, v[107:110], off offset:392 ; 16-byte Folded Spill
	;; [unrolled: 2-line block ×6, first 2 shown]
	v_fma_f64 v[33:34], v[33:34], v[89:90], v[49:50]
	v_fma_f64 v[35:36], v[35:36], v[89:90], -v[51:52]
	v_mul_f64_e32 v[49:50], v[39:40], v[95:96]
	v_mul_f64_e32 v[51:52], v[37:38], v[95:96]
	global_load_b128 v[87:90], v253, s[8:9] offset:57344
	v_fma_f64 v[37:38], v[37:38], v[93:94], v[49:50]
	v_fma_f64 v[39:40], v[39:40], v[93:94], -v[51:52]
	s_wait_loadcnt 0xa
	v_mul_f64_e32 v[49:50], v[43:44], v[99:100]
	v_mul_f64_e32 v[51:52], v[41:42], v[99:100]
	global_load_b128 v[91:94], v253, s[8:9] offset:4096
	s_wait_loadcnt 0xa
	scratch_store_b128 off, v[101:104], off offset:56 ; 16-byte Folded Spill
	v_fma_f64 v[41:42], v[41:42], v[97:98], v[49:50]
	v_fma_f64 v[43:44], v[43:44], v[97:98], -v[51:52]
	s_wait_loadcnt 0x9
	v_mul_f64_e32 v[49:50], v[47:48], v[103:104]
	v_mul_f64_e32 v[51:52], v[45:46], v[103:104]
	s_clause 0x1
	global_load_b128 v[95:98], v253, s[8:9] offset:10240
	global_load_b128 v[103:106], v253, s[8:9] offset:22528
	s_wait_loadcnt 0xa
	scratch_store_b128 off, v[59:62], off offset:200 ; 16-byte Folded Spill
	s_wait_loadcnt 0x9
	scratch_store_b128 off, v[63:66], off offset:216 ; 16-byte Folded Spill
	v_fma_f64 v[45:46], v[45:46], v[101:102], v[49:50]
	v_fma_f64 v[47:48], v[47:48], v[101:102], -v[51:52]
	global_load_b128 v[49:52], v[53:54], off
	global_load_b128 v[99:102], v253, s[8:9] offset:16384
	s_wait_loadcnt 0xa
	scratch_store_b128 off, v[67:70], off offset:232 ; 16-byte Folded Spill
	s_wait_loadcnt 0x9
	scratch_store_b128 off, v[71:74], off offset:248 ; 16-byte Folded Spill
	;; [unrolled: 2-line block ×9, first 2 shown]
	s_wait_loadcnt 0x1
	v_mul_f64_e32 v[57:58], v[49:50], v[61:62]
	v_mul_f64_e32 v[55:56], v[51:52], v[61:62]
	s_wait_loadcnt 0x0
	scratch_store_b128 off, v[99:102], off offset:360 ; 16-byte Folded Spill
	v_fma_f64 v[51:52], v[51:52], v[59:60], -v[57:58]
	v_add_co_u32 v57, vcc_lo, v53, s2
	s_wait_alu 0xfffd
	v_add_co_ci_u32_e32 v58, vcc_lo, s3, v54, vcc_lo
	v_fma_f64 v[49:50], v[49:50], v[59:60], v[55:56]
	global_load_b128 v[53:56], v[57:58], off
	s_wait_loadcnt 0x0
	v_mul_f64_e32 v[61:62], v[53:54], v[65:66]
	v_mul_f64_e32 v[59:60], v[55:56], v[65:66]
	s_delay_alu instid0(VALU_DEP_2) | instskip(SKIP_3) | instid1(VALU_DEP_4)
	v_fma_f64 v[55:56], v[55:56], v[63:64], -v[61:62]
	v_add_co_u32 v61, vcc_lo, v57, s2
	s_wait_alu 0xfffd
	v_add_co_ci_u32_e32 v62, vcc_lo, s3, v58, vcc_lo
	v_fma_f64 v[53:54], v[53:54], v[63:64], v[59:60]
	global_load_b128 v[57:60], v[61:62], off
	s_wait_loadcnt 0x0
	v_mul_f64_e32 v[65:66], v[57:58], v[69:70]
	v_mul_f64_e32 v[63:64], v[59:60], v[69:70]
	s_delay_alu instid0(VALU_DEP_2) | instskip(SKIP_3) | instid1(VALU_DEP_4)
	;; [unrolled: 10-line block ×6, first 2 shown]
	v_fma_f64 v[75:76], v[75:76], v[83:84], -v[81:82]
	v_add_co_u32 v81, vcc_lo, v77, s2
	s_wait_alu 0xfffd
	v_add_co_ci_u32_e32 v82, vcc_lo, s3, v78, vcc_lo
	v_fma_f64 v[73:74], v[73:74], v[83:84], v[79:80]
	global_load_b128 v[77:80], v[81:82], off
	s_wait_loadcnt 0x0
	v_mul_f64_e32 v[85:86], v[77:78], v[89:90]
	v_mul_f64_e32 v[83:84], v[79:80], v[89:90]
	s_delay_alu instid0(VALU_DEP_2) | instskip(SKIP_1) | instid1(VALU_DEP_3)
	v_fma_f64 v[79:80], v[79:80], v[87:88], -v[85:86]
	v_mad_co_u64_u32 v[85:86], null, 0xffff3000, s12, v[81:82]
	v_fma_f64 v[77:78], v[77:78], v[87:88], v[83:84]
	s_mov_b32 s12, 0x372fe950
	s_mov_b32 s13, 0x3fd3c6ef
	s_wait_alu 0xfffe
	s_mov_b32 s22, s12
	s_delay_alu instid0(VALU_DEP_2) | instskip(SKIP_4) | instid1(VALU_DEP_2)
	v_add_nc_u32_e32 v86, s4, v86
	global_load_b128 v[81:84], v[85:86], off
	s_wait_loadcnt 0x0
	v_mul_f64_e32 v[89:90], v[81:82], v[93:94]
	v_mul_f64_e32 v[87:88], v[83:84], v[93:94]
	v_fma_f64 v[83:84], v[83:84], v[91:92], -v[89:90]
	v_add_co_u32 v89, vcc_lo, v85, s2
	s_wait_alu 0xfffd
	v_add_co_ci_u32_e32 v90, vcc_lo, s3, v86, vcc_lo
	s_delay_alu instid0(VALU_DEP_4) | instskip(SKIP_4) | instid1(VALU_DEP_2)
	v_fma_f64 v[81:82], v[81:82], v[91:92], v[87:88]
	global_load_b128 v[85:88], v[89:90], off
	s_wait_loadcnt 0x0
	v_mul_f64_e32 v[93:94], v[85:86], v[97:98]
	v_mul_f64_e32 v[91:92], v[87:88], v[97:98]
	v_fma_f64 v[87:88], v[87:88], v[95:96], -v[93:94]
	v_add_co_u32 v93, vcc_lo, v89, s2
	s_wait_alu 0xfffd
	v_add_co_ci_u32_e32 v94, vcc_lo, s3, v90, vcc_lo
	s_delay_alu instid0(VALU_DEP_4) | instskip(SKIP_4) | instid1(VALU_DEP_2)
	v_fma_f64 v[85:86], v[85:86], v[95:96], v[91:92]
	;; [unrolled: 10-line block ×7, first 2 shown]
	global_load_b128 v[109:112], v[113:114], off
	s_wait_loadcnt 0x0
	v_mul_f64_e32 v[117:118], v[109:110], v[121:122]
	v_mul_f64_e32 v[115:116], v[111:112], v[121:122]
	v_fma_f64 v[111:112], v[111:112], v[119:120], -v[117:118]
	v_add_co_u32 v117, vcc_lo, v113, s2
	s_wait_alu 0xfffd
	v_add_co_ci_u32_e32 v118, vcc_lo, s3, v114, vcc_lo
	s_delay_alu instid0(VALU_DEP_4)
	v_fma_f64 v[109:110], v[109:110], v[119:120], v[115:116]
	global_load_b128 v[113:116], v[117:118], off
	v_add_co_u32 v117, vcc_lo, v117, s2
	s_wait_alu 0xfffd
	v_add_co_ci_u32_e32 v118, vcc_lo, s3, v118, vcc_lo
	s_mov_b32 s2, 0x4755a5e
	s_mov_b32 s3, 0x3fe2cf23
	s_wait_alu 0xfffe
	s_mov_b32 s14, s2
	v_cmp_gt_u32_e32 vcc_lo, 0x78, v255
	s_wait_loadcnt 0x0
	v_mul_f64_e32 v[119:120], v[115:116], v[125:126]
	v_mul_f64_e32 v[121:122], v[113:114], v[125:126]
	s_delay_alu instid0(VALU_DEP_2)
	v_fma_f64 v[113:114], v[113:114], v[123:124], v[119:120]
	global_load_b128 v[117:120], v[117:118], off
	global_load_b128 v[125:128], v253, s[8:9] offset:59392
	v_fma_f64 v[115:116], v[115:116], v[123:124], -v[121:122]
	s_wait_loadcnt 0x0
	v_mul_f64_e32 v[121:122], v[119:120], v[127:128]
	v_mul_f64_e32 v[123:124], v[117:118], v[127:128]
	scratch_store_b128 off, v[125:128], off offset:472 ; 16-byte Folded Spill
	v_fma_f64 v[117:118], v[117:118], v[125:126], v[121:122]
	v_fma_f64 v[119:120], v[119:120], v[125:126], -v[123:124]
	ds_store_b128 v253, v[1:4]
	ds_store_b128 v253, v[5:8] offset:6144
	ds_store_b128 v253, v[9:12] offset:12288
	;; [unrolled: 1-line block ×29, first 2 shown]
	s_load_b128 s[4:7], s[6:7], 0x0
	global_wb scope:SCOPE_SE
	s_wait_storecnt_dscnt 0x0
	s_wait_kmcnt 0x0
	s_barrier_signal -1
	s_barrier_wait -1
	global_inv scope:SCOPE_SE
	ds_load_b128 v[1:4], v253
	ds_load_b128 v[5:8], v253 offset:12288
	ds_load_b128 v[9:12], v253 offset:24576
	s_wait_dscnt 0x1
	v_add_f64_e32 v[13:14], v[1:2], v[5:6]
	s_wait_dscnt 0x0
	v_add_f64_e64 v[49:50], v[5:6], -v[9:10]
	v_add_f64_e64 v[37:38], v[9:10], -v[5:6]
	;; [unrolled: 1-line block ×4, first 2 shown]
	v_add_f64_e32 v[17:18], v[13:14], v[9:10]
	v_add_f64_e32 v[13:14], v[3:4], v[7:8]
	s_delay_alu instid0(VALU_DEP_1)
	v_add_f64_e32 v[19:20], v[13:14], v[11:12]
	ds_load_b128 v[13:16], v253 offset:36864
	s_wait_dscnt 0x0
	v_add_f64_e32 v[69:70], v[9:10], v[13:14]
	v_add_f64_e64 v[21:22], v[11:12], -v[15:16]
	v_add_f64_e32 v[71:72], v[11:12], v[15:16]
	v_add_f64_e64 v[23:24], v[9:10], -v[13:14]
	ds_load_b128 v[9:12], v253 offset:49152
	s_wait_dscnt 0x0
	v_add_f64_e64 v[25:26], v[7:8], -v[11:12]
	v_add_f64_e32 v[73:74], v[5:6], v[9:10]
	v_add_f64_e64 v[27:28], v[5:6], -v[9:10]
	v_add_f64_e32 v[75:76], v[7:8], v[11:12]
	v_add_f64_e32 v[5:6], v[17:18], v[13:14]
	;; [unrolled: 1-line block ×3, first 2 shown]
	v_add_f64_e64 v[57:58], v[9:10], -v[13:14]
	v_add_f64_e64 v[41:42], v[13:14], -v[9:10]
	;; [unrolled: 1-line block ×4, first 2 shown]
	v_fma_f64 v[73:74], v[73:74], -0.5, v[1:2]
	v_fma_f64 v[75:76], v[75:76], -0.5, v[3:4]
	v_add_f64_e32 v[77:78], v[5:6], v[9:10]
	v_add_f64_e32 v[79:80], v[7:8], v[11:12]
	ds_load_b128 v[5:8], v253 offset:6144
	ds_load_b128 v[9:12], v253 offset:18432
	;; [unrolled: 1-line block ×3, first 2 shown]
	v_add_f64_e32 v[57:58], v[49:50], v[57:58]
	v_add_f64_e32 v[59:60], v[51:52], v[59:60]
	s_wait_dscnt 0x1
	v_add_f64_e32 v[17:18], v[5:6], v[9:10]
	s_wait_dscnt 0x0
	v_add_f64_e64 v[61:62], v[9:10], -v[13:14]
	v_add_f64_e64 v[45:46], v[13:14], -v[9:10]
	;; [unrolled: 1-line block ×4, first 2 shown]
	v_add_f64_e32 v[53:54], v[17:18], v[13:14]
	v_add_f64_e32 v[17:18], v[7:8], v[11:12]
	s_delay_alu instid0(VALU_DEP_1)
	v_add_f64_e32 v[55:56], v[17:18], v[15:16]
	ds_load_b128 v[17:20], v253 offset:43008
	s_wait_dscnt 0x0
	v_add_f64_e32 v[81:82], v[13:14], v[17:18]
	v_add_f64_e64 v[29:30], v[15:16], -v[19:20]
	v_add_f64_e32 v[83:84], v[15:16], v[19:20]
	v_add_f64_e64 v[31:32], v[13:14], -v[17:18]
	ds_load_b128 v[13:16], v253 offset:55296
	s_wait_dscnt 0x0
	v_add_f64_e64 v[35:36], v[11:12], -v[15:16]
	v_add_f64_e32 v[85:86], v[9:10], v[13:14]
	v_add_f64_e64 v[33:34], v[9:10], -v[13:14]
	v_add_f64_e32 v[87:88], v[11:12], v[15:16]
	v_add_f64_e32 v[9:10], v[53:54], v[17:18]
	;; [unrolled: 1-line block ×3, first 2 shown]
	v_add_f64_e64 v[65:66], v[13:14], -v[17:18]
	v_add_f64_e64 v[53:54], v[17:18], -v[13:14]
	;; [unrolled: 1-line block ×4, first 2 shown]
	v_add_f64_e32 v[89:90], v[9:10], v[13:14]
	v_add_f64_e32 v[91:92], v[11:12], v[15:16]
	ds_load_b128 v[9:12], v253 offset:2048
	ds_load_b128 v[13:16], v253 offset:14336
	;; [unrolled: 1-line block ×4, first 2 shown]
	v_add_f64_e32 v[61:62], v[61:62], v[65:66]
	v_add_f64_e32 v[63:64], v[63:64], v[67:68]
	;; [unrolled: 1-line block ×4, first 2 shown]
	s_wait_dscnt 0x2
	v_add_f64_e32 v[93:94], v[9:10], v[13:14]
	s_wait_dscnt 0x1
	v_add_f64_e64 v[117:118], v[13:14], -v[17:18]
	s_wait_dscnt 0x0
	v_add_f64_e32 v[141:142], v[17:18], v[101:102]
	v_add_f64_e64 v[109:110], v[17:18], -v[13:14]
	v_add_f64_e32 v[147:148], v[19:20], v[103:104]
	v_add_f64_e64 v[95:96], v[17:18], -v[101:102]
	v_add_f64_e64 v[119:120], v[15:16], -v[19:20]
	;; [unrolled: 1-line block ×3, first 2 shown]
	v_add_f64_e32 v[105:106], v[93:94], v[17:18]
	v_add_f64_e32 v[93:94], v[11:12], v[15:16]
	s_delay_alu instid0(VALU_DEP_1)
	v_add_f64_e32 v[107:108], v[93:94], v[19:20]
	v_add_f64_e64 v[93:94], v[19:20], -v[103:104]
	ds_load_b128 v[17:20], v253 offset:51200
	s_wait_dscnt 0x0
	v_add_f64_e64 v[97:98], v[15:16], -v[19:20]
	v_add_f64_e32 v[149:150], v[13:14], v[17:18]
	v_add_f64_e64 v[99:100], v[13:14], -v[17:18]
	v_add_f64_e32 v[151:152], v[15:16], v[19:20]
	v_add_f64_e32 v[13:14], v[105:106], v[101:102]
	v_add_f64_e64 v[125:126], v[17:18], -v[101:102]
	v_add_f64_e64 v[113:114], v[101:102], -v[17:18]
	;; [unrolled: 1-line block ×4, first 2 shown]
	v_add_f64_e32 v[15:16], v[107:108], v[103:104]
	v_add_f64_e32 v[143:144], v[13:14], v[17:18]
	s_delay_alu instid0(VALU_DEP_2)
	v_add_f64_e32 v[145:146], v[15:16], v[19:20]
	ds_load_b128 v[13:16], v253 offset:8192
	ds_load_b128 v[17:20], v253 offset:20480
	;; [unrolled: 1-line block ×5, first 2 shown]
	s_wait_dscnt 0x3
	v_add_f64_e32 v[101:102], v[13:14], v[17:18]
	s_wait_dscnt 0x2
	v_add_f64_e64 v[133:134], v[17:18], -v[103:104]
	v_add_f64_e64 v[121:122], v[103:104], -v[17:18]
	s_wait_dscnt 0x1
	v_add_f64_e32 v[155:156], v[105:106], v[131:132]
	v_add_f64_e64 v[135:136], v[19:20], -v[105:106]
	v_add_f64_e64 v[123:124], v[105:106], -v[19:20]
	s_wait_dscnt 0x0
	v_add_f64_e64 v[107:108], v[19:20], -v[159:160]
	v_add_f64_e32 v[163:164], v[17:18], v[157:158]
	v_add_f64_e32 v[165:166], v[19:20], v[159:160]
	;; [unrolled: 1-line block ×5, first 2 shown]
	v_add_f64_e64 v[103:104], v[103:104], -v[129:130]
	s_delay_alu instid0(VALU_DEP_2)
	v_add_f64_e32 v[139:140], v[101:102], v[105:106]
	v_add_f64_e64 v[101:102], v[105:106], -v[131:132]
	v_add_f64_e64 v[105:106], v[17:18], -v[157:158]
	v_add_f64_e32 v[17:18], v[137:138], v[129:130]
	v_add_f64_e64 v[137:138], v[157:158], -v[129:130]
	v_add_f64_e64 v[129:130], v[129:130], -v[157:158]
	;; [unrolled: 3-line block ×3, first 2 shown]
	v_add_f64_e32 v[157:158], v[17:18], v[157:158]
	s_delay_alu instid0(VALU_DEP_4)
	v_add_f64_e32 v[161:162], v[19:20], v[159:160]
	ds_load_b128 v[17:20], v253 offset:4096
	ds_load_b128 v[181:184], v253 offset:16384
	;; [unrolled: 1-line block ×9, first 2 shown]
	s_wait_dscnt 0x7
	v_add_f64_e32 v[159:160], v[17:18], v[181:182]
	v_add_f64_e32 v[167:168], v[19:20], v[183:184]
	s_wait_dscnt 0x5
	v_add_f64_e32 v[215:216], v[177:178], v[189:190]
	v_add_f64_e64 v[175:176], v[181:182], -v[177:178]
	v_add_f64_e64 v[171:172], v[177:178], -v[181:182]
	v_add_f64_e32 v[217:218], v[179:180], v[191:192]
	v_add_f64_e64 v[169:170], v[177:178], -v[189:190]
	v_add_f64_e64 v[173:174], v[179:180], -v[183:184]
	s_wait_dscnt 0x4
	v_add_f64_e32 v[221:222], v[183:184], v[195:196]
	v_add_f64_e64 v[187:188], v[193:194], -v[189:190]
	v_add_f64_e32 v[219:220], v[181:182], v[193:194]
	v_add_f64_e64 v[181:182], v[181:182], -v[193:194]
	s_wait_dscnt 0x0
	v_add_f64_e32 v[229:230], v[207:208], v[211:212]
	v_add_f64_e64 v[231:232], v[203:204], -v[207:208]
	v_add_f64_e32 v[233:234], v[209:210], v[213:214]
	v_add_f64_e64 v[235:236], v[205:206], -v[209:210]
	v_add_f64_e32 v[159:160], v[159:160], v[177:178]
	v_add_f64_e32 v[185:186], v[167:168], v[179:180]
	v_add_f64_e64 v[167:168], v[179:180], -v[191:192]
	v_add_f64_e64 v[177:178], v[183:184], -v[179:180]
	;; [unrolled: 1-line block ×4, first 2 shown]
	v_add_f64_e32 v[159:160], v[159:160], v[189:190]
	v_add_f64_e32 v[197:198], v[185:186], v[191:192]
	v_add_f64_e64 v[189:190], v[195:196], -v[191:192]
	v_add_f64_e64 v[185:186], v[191:192], -v[195:196]
	v_add_f64_e32 v[191:192], v[199:200], v[203:204]
	v_add_f64_e32 v[159:160], v[159:160], v[193:194]
	v_add_f64_e32 v[223:224], v[197:198], v[195:196]
	v_add_f64_e64 v[195:196], v[207:208], -v[203:204]
	v_add_f64_e64 v[193:194], v[207:208], -v[211:212]
	v_add_f64_e32 v[225:226], v[191:192], v[207:208]
	v_add_f64_e32 v[191:192], v[201:202], v[205:206]
	v_add_f64_e64 v[197:198], v[209:210], -v[205:206]
	s_delay_alu instid0(VALU_DEP_3) | instskip(NEXT) | instid1(VALU_DEP_3)
	v_add_f64_e32 v[225:226], v[225:226], v[211:212]
	v_add_f64_e32 v[227:228], v[191:192], v[209:210]
	v_add_f64_e64 v[191:192], v[209:210], -v[213:214]
	ds_load_b128 v[207:210], v253 offset:59392
	global_wb scope:SCOPE_SE
	s_wait_dscnt 0x0
	s_barrier_signal -1
	s_barrier_wait -1
	global_inv scope:SCOPE_SE
	v_add_f64_e64 v[237:238], v[205:206], -v[209:210]
	v_add_f64_e32 v[239:240], v[203:204], v[207:208]
	v_add_f64_e64 v[203:204], v[203:204], -v[207:208]
	v_add_f64_e32 v[205:206], v[205:206], v[209:210]
	v_add_f64_e64 v[241:242], v[207:208], -v[211:212]
	v_add_f64_e64 v[211:212], v[211:212], -v[207:208]
	;; [unrolled: 1-line block ×3, first 2 shown]
	v_add_f64_e32 v[207:208], v[225:226], v[207:208]
	v_add_f64_e32 v[227:228], v[227:228], v[213:214]
	v_add_f64_e64 v[213:214], v[213:214], -v[209:210]
	v_fma_f64 v[225:226], v[69:70], -0.5, v[1:2]
	v_add_f64_e32 v[1:2], v[77:78], v[89:90]
	v_add_f64_e64 v[69:70], v[77:78], -v[89:90]
	v_fma_f64 v[77:78], v[81:82], -0.5, v[5:6]
	v_fma_f64 v[81:82], v[83:84], -0.5, v[7:8]
	;; [unrolled: 1-line block ×10, first 2 shown]
	v_add_f64_e32 v[7:8], v[145:146], v[161:162]
	v_fma_f64 v[201:202], v[205:206], -0.5, v[201:202]
	v_add_f64_e32 v[209:210], v[227:228], v[209:210]
	v_fma_f64 v[227:228], v[71:72], -0.5, v[3:4]
	v_add_f64_e32 v[3:4], v[79:80], v[91:92]
	v_add_f64_e64 v[71:72], v[79:80], -v[91:92]
	ds_store_b128 v254, v[1:4]
	ds_store_b128 v254, v[69:72] offset:80
	v_fma_f64 v[0:1], v[35:36], s[16:17], v[77:78]
	v_fma_f64 v[2:3], v[33:34], s[18:19], v[81:82]
	v_fma_f64 v[79:80], v[85:86], -0.5, v[5:6]
	v_fma_f64 v[85:86], v[141:142], -0.5, v[9:10]
	;; [unrolled: 1-line block ×5, first 2 shown]
	v_add_f64_e32 v[71:72], v[123:124], v[131:132]
	v_add_f64_e32 v[69:70], v[121:122], v[129:130]
	v_fma_f64 v[153:154], v[215:216], -0.5, v[17:18]
	v_fma_f64 v[215:216], v[229:230], -0.5, v[199:200]
	;; [unrolled: 1-line block ×4, first 2 shown]
	v_add_f64_e32 v[5:6], v[143:144], v[157:158]
	v_add_f64_e64 v[9:10], v[143:144], -v[157:158]
	v_add_f64_e64 v[11:12], v[145:146], -v[161:162]
	v_add_f64_e32 v[13:14], v[159:160], v[207:208]
	v_add_f64_e32 v[15:16], v[223:224], v[209:210]
	v_add_f64_e64 v[17:18], v[159:160], -v[207:208]
	v_add_f64_e64 v[19:20], v[223:224], -v[209:210]
	v_or_b32_e32 v161, 0x200, v255
	v_fma_f64 v[0:1], v[29:30], s[2:3], v[0:1]
	v_fma_f64 v[2:3], v[31:32], s[14:15], v[2:3]
	s_delay_alu instid0(VALU_DEP_2) | instskip(NEXT) | instid1(VALU_DEP_2)
	v_fma_f64 v[0:1], v[61:62], s[12:13], v[0:1]
	v_fma_f64 v[2:3], v[63:64], s[12:13], v[2:3]
	s_delay_alu instid0(VALU_DEP_2) | instskip(SKIP_1) | instid1(VALU_DEP_2)
	v_mul_f64_e32 v[49:50], s[20:21], v[0:1]
	v_mul_f64_e32 v[0:1], s[14:15], v[0:1]
	v_fma_f64 v[49:50], v[2:3], s[2:3], v[49:50]
	s_delay_alu instid0(VALU_DEP_2) | instskip(SKIP_2) | instid1(VALU_DEP_2)
	v_fma_f64 v[51:52], v[2:3], s[20:21], v[0:1]
	v_fma_f64 v[0:1], v[25:26], s[16:17], v[225:226]
	;; [unrolled: 1-line block ×4, first 2 shown]
	s_delay_alu instid0(VALU_DEP_2) | instskip(NEXT) | instid1(VALU_DEP_2)
	v_fma_f64 v[2:3], v[23:24], s[14:15], v[2:3]
	v_fma_f64 v[65:66], v[57:58], s[12:13], v[0:1]
	s_delay_alu instid0(VALU_DEP_2) | instskip(NEXT) | instid1(VALU_DEP_2)
	v_fma_f64 v[67:68], v[59:60], s[12:13], v[2:3]
	v_add_f64_e32 v[1:2], v[65:66], v[49:50]
	v_add_f64_e64 v[49:50], v[65:66], -v[49:50]
	v_add_f64_e32 v[65:66], v[37:38], v[41:42]
	v_fma_f64 v[37:38], v[31:32], s[16:17], v[83:84]
	v_add_f64_e32 v[3:4], v[67:68], v[51:52]
	v_add_f64_e64 v[51:52], v[67:68], -v[51:52]
	v_add_f64_e32 v[67:68], v[39:40], v[43:44]
	v_fma_f64 v[39:40], v[29:30], s[18:19], v[79:80]
	v_fma_f64 v[37:38], v[33:34], s[14:15], v[37:38]
	s_delay_alu instid0(VALU_DEP_2) | instskip(NEXT) | instid1(VALU_DEP_2)
	v_fma_f64 v[39:40], v[35:36], s[2:3], v[39:40]
	v_fma_f64 v[37:38], v[47:48], s[12:13], v[37:38]
	s_delay_alu instid0(VALU_DEP_2) | instskip(NEXT) | instid1(VALU_DEP_2)
	v_fma_f64 v[39:40], v[45:46], s[12:13], v[39:40]
	v_mul_f64_e32 v[41:42], s[16:17], v[37:38]
	s_delay_alu instid0(VALU_DEP_1) | instskip(SKIP_1) | instid1(VALU_DEP_1)
	v_fma_f64 v[41:42], v[39:40], s[12:13], v[41:42]
	v_mul_f64_e32 v[39:40], s[18:19], v[39:40]
	v_fma_f64 v[43:44], v[37:38], s[12:13], v[39:40]
	v_fma_f64 v[37:38], v[21:22], s[18:19], v[73:74]
	;; [unrolled: 1-line block ×3, first 2 shown]
	s_delay_alu instid0(VALU_DEP_2) | instskip(NEXT) | instid1(VALU_DEP_2)
	v_fma_f64 v[37:38], v[25:26], s[2:3], v[37:38]
	v_fma_f64 v[39:40], v[27:28], s[14:15], v[39:40]
	s_delay_alu instid0(VALU_DEP_2) | instskip(NEXT) | instid1(VALU_DEP_2)
	v_fma_f64 v[53:54], v[65:66], s[12:13], v[37:38]
	v_fma_f64 v[55:56], v[67:68], s[12:13], v[39:40]
	s_delay_alu instid0(VALU_DEP_2) | instskip(SKIP_2) | instid1(VALU_DEP_4)
	v_add_f64_e32 v[37:38], v[53:54], v[41:42]
	v_add_f64_e64 v[41:42], v[53:54], -v[41:42]
	v_fma_f64 v[53:54], v[21:22], s[16:17], v[73:74]
	v_add_f64_e32 v[39:40], v[55:56], v[43:44]
	v_add_f64_e64 v[43:44], v[55:56], -v[43:44]
	v_fma_f64 v[55:56], v[23:24], s[18:19], v[75:76]
	v_add_f64_e32 v[73:74], v[117:118], v[125:126]
	v_add_f64_e32 v[75:76], v[119:120], v[127:128]
	v_fma_f64 v[117:118], v[181:182], s[16:17], v[163:164]
	v_fma_f64 v[119:120], v[203:204], s[16:17], v[217:218]
	v_fma_f64 v[53:54], v[25:26], s[14:15], v[53:54]
	v_fma_f64 v[25:26], v[25:26], s[18:19], v[225:226]
	v_fma_f64 v[55:56], v[27:28], s[2:3], v[55:56]
	v_fma_f64 v[27:28], v[27:28], s[16:17], v[227:228]
	v_fma_f64 v[117:118], v[169:170], s[2:3], v[117:118]
	v_fma_f64 v[119:120], v[193:194], s[2:3], v[119:120]
	v_fma_f64 v[53:54], v[65:66], s[12:13], v[53:54]
	v_fma_f64 v[65:66], v[29:30], s[16:17], v[79:80]
	v_fma_f64 v[21:22], v[21:22], s[14:15], v[25:26]
	v_add_f64_e32 v[79:80], v[135:136], v[139:140]
	v_fma_f64 v[23:24], v[23:24], s[2:3], v[27:28]
	v_fma_f64 v[55:56], v[67:68], s[12:13], v[55:56]
	;; [unrolled: 1-line block ×4, first 2 shown]
	v_add_f64_e32 v[77:78], v[133:134], v[137:138]
	s_delay_alu instid0(VALU_DEP_3) | instskip(SKIP_1) | instid1(VALU_DEP_4)
	v_fma_f64 v[45:46], v[45:46], s[12:13], v[65:66]
	v_fma_f64 v[65:66], v[31:32], s[18:19], v[83:84]
	;; [unrolled: 1-line block ×3, first 2 shown]
	s_delay_alu instid0(VALU_DEP_2) | instskip(SKIP_1) | instid1(VALU_DEP_3)
	v_fma_f64 v[65:66], v[33:34], s[2:3], v[65:66]
	v_fma_f64 v[33:34], v[33:34], s[16:17], v[81:82]
	;; [unrolled: 1-line block ×4, first 2 shown]
	s_delay_alu instid0(VALU_DEP_4) | instskip(NEXT) | instid1(VALU_DEP_4)
	v_fma_f64 v[47:48], v[47:48], s[12:13], v[65:66]
	v_fma_f64 v[25:26], v[31:32], s[2:3], v[33:34]
	;; [unrolled: 1-line block ×3, first 2 shown]
	v_mul_f64_e32 v[23:24], s[24:25], v[27:28]
	v_mul_f64_e32 v[65:66], s[22:23], v[45:46]
	s_delay_alu instid0(VALU_DEP_4) | instskip(NEXT) | instid1(VALU_DEP_2)
	v_fma_f64 v[21:22], v[63:64], s[12:13], v[25:26]
	v_fma_f64 v[65:66], v[47:48], s[16:17], v[65:66]
	v_mul_f64_e32 v[47:48], s[22:23], v[47:48]
	s_delay_alu instid0(VALU_DEP_3) | instskip(SKIP_1) | instid1(VALU_DEP_3)
	v_fma_f64 v[25:26], v[21:22], s[2:3], v[23:24]
	v_mul_f64_e32 v[21:22], s[24:25], v[21:22]
	v_fma_f64 v[67:68], v[45:46], s[18:19], v[47:48]
	v_add_f64_e32 v[45:46], v[53:54], v[65:66]
	v_add_f64_e64 v[53:54], v[53:54], -v[65:66]
	v_add_f64_e32 v[65:66], v[109:110], v[113:114]
	v_add_f64_e32 v[109:110], v[231:232], v[241:242]
	v_fma_f64 v[27:28], v[27:28], s[14:15], v[21:22]
	v_add_f64_e32 v[21:22], v[29:30], v[25:26]
	v_add_f64_e64 v[25:26], v[29:30], -v[25:26]
	v_fma_f64 v[29:30], v[107:108], s[16:17], v[141:142]
	v_add_f64_e32 v[47:48], v[55:56], v[67:68]
	v_add_f64_e64 v[55:56], v[55:56], -v[67:68]
	v_add_f64_e32 v[67:68], v[111:112], v[115:116]
	v_add_f64_e32 v[111:112], v[235:236], v[243:244]
	;; [unrolled: 1-line block ×3, first 2 shown]
	v_add_f64_e64 v[27:28], v[31:32], -v[27:28]
	v_fma_f64 v[31:32], v[105:106], s[18:19], v[149:150]
	v_fma_f64 v[29:30], v[101:102], s[2:3], v[29:30]
	ds_store_b128 v254, v[1:4] offset:16
	ds_store_b128 v254, v[37:40] offset:32
	;; [unrolled: 1-line block ×8, first 2 shown]
	v_fma_f64 v[31:32], v[103:104], s[14:15], v[31:32]
	v_fma_f64 v[29:30], v[77:78], s[12:13], v[29:30]
	s_delay_alu instid0(VALU_DEP_2) | instskip(NEXT) | instid1(VALU_DEP_2)
	v_fma_f64 v[31:32], v[79:80], s[12:13], v[31:32]
	v_mul_f64_e32 v[33:34], s[20:21], v[29:30]
	v_mul_f64_e32 v[29:30], s[14:15], v[29:30]
	s_delay_alu instid0(VALU_DEP_2) | instskip(NEXT) | instid1(VALU_DEP_2)
	v_fma_f64 v[33:34], v[31:32], s[2:3], v[33:34]
	v_fma_f64 v[35:36], v[31:32], s[20:21], v[29:30]
	v_fma_f64 v[29:30], v[97:98], s[16:17], v[85:86]
	v_fma_f64 v[31:32], v[99:100], s[18:19], v[89:90]
	s_delay_alu instid0(VALU_DEP_2) | instskip(NEXT) | instid1(VALU_DEP_2)
	v_fma_f64 v[29:30], v[93:94], s[2:3], v[29:30]
	v_fma_f64 v[31:32], v[95:96], s[14:15], v[31:32]
	s_delay_alu instid0(VALU_DEP_2) | instskip(NEXT) | instid1(VALU_DEP_2)
	v_fma_f64 v[57:58], v[73:74], s[12:13], v[29:30]
	v_fma_f64 v[59:60], v[75:76], s[12:13], v[31:32]
	s_delay_alu instid0(VALU_DEP_2) | instskip(SKIP_2) | instid1(VALU_DEP_4)
	v_add_f64_e32 v[29:30], v[57:58], v[33:34]
	v_add_f64_e64 v[33:34], v[57:58], -v[33:34]
	v_fma_f64 v[57:58], v[103:104], s[16:17], v[151:152]
	v_add_f64_e32 v[31:32], v[59:60], v[35:36]
	v_add_f64_e64 v[35:36], v[59:60], -v[35:36]
	v_fma_f64 v[59:60], v[101:102], s[18:19], v[147:148]
	s_delay_alu instid0(VALU_DEP_4) | instskip(NEXT) | instid1(VALU_DEP_2)
	v_fma_f64 v[57:58], v[105:106], s[14:15], v[57:58]
	v_fma_f64 v[59:60], v[107:108], s[2:3], v[59:60]
	s_delay_alu instid0(VALU_DEP_2) | instskip(NEXT) | instid1(VALU_DEP_2)
	v_fma_f64 v[57:58], v[71:72], s[12:13], v[57:58]
	v_fma_f64 v[59:60], v[69:70], s[12:13], v[59:60]
	s_delay_alu instid0(VALU_DEP_2) | instskip(NEXT) | instid1(VALU_DEP_1)
	v_mul_f64_e32 v[61:62], s[16:17], v[57:58]
	v_fma_f64 v[61:62], v[59:60], s[12:13], v[61:62]
	v_mul_f64_e32 v[59:60], s[18:19], v[59:60]
	s_delay_alu instid0(VALU_DEP_1) | instskip(SKIP_2) | instid1(VALU_DEP_2)
	v_fma_f64 v[63:64], v[57:58], s[12:13], v[59:60]
	v_fma_f64 v[57:58], v[93:94], s[18:19], v[87:88]
	;; [unrolled: 1-line block ×4, first 2 shown]
	s_delay_alu instid0(VALU_DEP_2) | instskip(NEXT) | instid1(VALU_DEP_2)
	v_fma_f64 v[59:60], v[99:100], s[14:15], v[59:60]
	v_fma_f64 v[81:82], v[65:66], s[12:13], v[57:58]
	s_delay_alu instid0(VALU_DEP_2) | instskip(NEXT) | instid1(VALU_DEP_2)
	v_fma_f64 v[83:84], v[67:68], s[12:13], v[59:60]
	v_add_f64_e32 v[57:58], v[81:82], v[61:62]
	v_add_f64_e64 v[61:62], v[81:82], -v[61:62]
	v_fma_f64 v[81:82], v[93:94], s[16:17], v[87:88]
	s_delay_alu instid0(VALU_DEP_4) | instskip(SKIP_2) | instid1(VALU_DEP_4)
	v_add_f64_e32 v[59:60], v[83:84], v[63:64]
	v_add_f64_e64 v[63:64], v[83:84], -v[63:64]
	v_fma_f64 v[87:88], v[105:106], s[16:17], v[149:150]
	v_fma_f64 v[81:82], v[97:98], s[14:15], v[81:82]
	s_delay_alu instid0(VALU_DEP_2) | instskip(NEXT) | instid1(VALU_DEP_2)
	v_fma_f64 v[87:88], v[103:104], s[2:3], v[87:88]
	v_fma_f64 v[81:82], v[65:66], s[12:13], v[81:82]
	;; [unrolled: 1-line block ×3, first 2 shown]
	s_delay_alu instid0(VALU_DEP_1) | instskip(NEXT) | instid1(VALU_DEP_1)
	v_fma_f64 v[65:66], v[99:100], s[2:3], v[65:66]
	v_fma_f64 v[83:84], v[67:68], s[12:13], v[65:66]
	;; [unrolled: 1-line block ×4, first 2 shown]
	v_add_f64_e32 v[103:104], v[197:198], v[213:214]
	s_delay_alu instid0(VALU_DEP_3) | instskip(NEXT) | instid1(VALU_DEP_3)
	v_fma_f64 v[65:66], v[107:108], s[14:15], v[65:66]
	v_fma_f64 v[67:68], v[105:106], s[2:3], v[67:68]
	v_add_f64_e32 v[105:106], v[175:176], v[187:188]
	s_delay_alu instid0(VALU_DEP_3) | instskip(NEXT) | instid1(VALU_DEP_3)
	v_fma_f64 v[65:66], v[69:70], s[12:13], v[65:66]
	v_fma_f64 v[67:68], v[71:72], s[12:13], v[67:68]
	s_delay_alu instid0(VALU_DEP_2) | instskip(NEXT) | instid1(VALU_DEP_1)
	v_mul_f64_e32 v[69:70], s[22:23], v[65:66]
	v_fma_f64 v[69:70], v[67:68], s[16:17], v[69:70]
	v_mul_f64_e32 v[67:68], s[22:23], v[67:68]
	s_delay_alu instid0(VALU_DEP_1) | instskip(NEXT) | instid1(VALU_DEP_3)
	v_fma_f64 v[71:72], v[65:66], s[18:19], v[67:68]
	v_add_f64_e32 v[65:66], v[81:82], v[69:70]
	v_add_f64_e64 v[69:70], v[81:82], -v[69:70]
	v_fma_f64 v[81:82], v[107:108], s[18:19], v[141:142]
	v_add_f64_e32 v[107:108], v[177:178], v[189:190]
	v_add_f64_e32 v[67:68], v[83:84], v[71:72]
	v_add_f64_e64 v[71:72], v[83:84], -v[71:72]
	v_fma_f64 v[83:84], v[97:98], s[18:19], v[85:86]
	v_fma_f64 v[85:86], v[99:100], s[16:17], v[89:90]
	;; [unrolled: 1-line block ×3, first 2 shown]
	v_add_f64_e32 v[101:102], v[195:196], v[211:212]
	v_add_f64_e32 v[97:98], v[171:172], v[183:184]
	;; [unrolled: 1-line block ×3, first 2 shown]
	v_fma_f64 v[83:84], v[93:94], s[14:15], v[83:84]
	v_fma_f64 v[85:86], v[95:96], s[2:3], v[85:86]
	;; [unrolled: 1-line block ×3, first 2 shown]
	s_delay_alu instid0(VALU_DEP_3) | instskip(NEXT) | instid1(VALU_DEP_3)
	v_fma_f64 v[81:82], v[73:74], s[12:13], v[83:84]
	v_fma_f64 v[83:84], v[75:76], s[12:13], v[85:86]
	;; [unrolled: 1-line block ×3, first 2 shown]
	s_delay_alu instid0(VALU_DEP_4) | instskip(NEXT) | instid1(VALU_DEP_1)
	v_mul_f64_e32 v[75:76], s[24:25], v[77:78]
	v_fma_f64 v[79:80], v[73:74], s[2:3], v[75:76]
	v_mul_f64_e32 v[73:74], s[24:25], v[73:74]
	s_delay_alu instid0(VALU_DEP_1) | instskip(NEXT) | instid1(VALU_DEP_3)
	v_fma_f64 v[85:86], v[77:78], s[14:15], v[73:74]
	v_add_f64_e32 v[73:74], v[81:82], v[79:80]
	v_add_f64_e64 v[77:78], v[81:82], -v[79:80]
	v_fma_f64 v[81:82], v[237:238], s[16:17], v[215:216]
	s_delay_alu instid0(VALU_DEP_4) | instskip(SKIP_2) | instid1(VALU_DEP_4)
	v_add_f64_e32 v[75:76], v[83:84], v[85:86]
	v_add_f64_e64 v[79:80], v[83:84], -v[85:86]
	v_fma_f64 v[83:84], v[203:204], s[18:19], v[217:218]
	v_fma_f64 v[81:82], v[191:192], s[2:3], v[81:82]
	s_delay_alu instid0(VALU_DEP_2) | instskip(NEXT) | instid1(VALU_DEP_2)
	v_fma_f64 v[83:84], v[193:194], s[14:15], v[83:84]
	v_fma_f64 v[81:82], v[109:110], s[12:13], v[81:82]
	s_delay_alu instid0(VALU_DEP_2) | instskip(NEXT) | instid1(VALU_DEP_2)
	v_fma_f64 v[83:84], v[111:112], s[12:13], v[83:84]
	v_mul_f64_e32 v[85:86], s[20:21], v[81:82]
	v_mul_f64_e32 v[81:82], s[14:15], v[81:82]
	s_delay_alu instid0(VALU_DEP_2) | instskip(NEXT) | instid1(VALU_DEP_2)
	v_fma_f64 v[85:86], v[83:84], s[2:3], v[85:86]
	v_fma_f64 v[87:88], v[83:84], s[20:21], v[81:82]
	;; [unrolled: 1-line block ×4, first 2 shown]
	s_delay_alu instid0(VALU_DEP_2) | instskip(NEXT) | instid1(VALU_DEP_2)
	v_fma_f64 v[81:82], v[167:168], s[2:3], v[81:82]
	v_fma_f64 v[83:84], v[169:170], s[14:15], v[83:84]
	s_delay_alu instid0(VALU_DEP_2) | instskip(NEXT) | instid1(VALU_DEP_2)
	v_fma_f64 v[89:90], v[105:106], s[12:13], v[81:82]
	v_fma_f64 v[91:92], v[107:108], s[12:13], v[83:84]
	s_delay_alu instid0(VALU_DEP_2) | instskip(SKIP_2) | instid1(VALU_DEP_4)
	v_add_f64_e32 v[81:82], v[89:90], v[85:86]
	v_add_f64_e64 v[85:86], v[89:90], -v[85:86]
	v_fma_f64 v[89:90], v[193:194], s[16:17], v[201:202]
	v_add_f64_e32 v[83:84], v[91:92], v[87:88]
	v_add_f64_e64 v[87:88], v[91:92], -v[87:88]
	v_fma_f64 v[91:92], v[191:192], s[18:19], v[199:200]
	s_delay_alu instid0(VALU_DEP_4) | instskip(NEXT) | instid1(VALU_DEP_2)
	v_fma_f64 v[89:90], v[203:204], s[14:15], v[89:90]
	v_fma_f64 v[91:92], v[237:238], s[2:3], v[91:92]
	s_delay_alu instid0(VALU_DEP_2) | instskip(NEXT) | instid1(VALU_DEP_2)
	v_fma_f64 v[89:90], v[103:104], s[12:13], v[89:90]
	v_fma_f64 v[91:92], v[101:102], s[12:13], v[91:92]
	s_delay_alu instid0(VALU_DEP_2) | instskip(NEXT) | instid1(VALU_DEP_1)
	v_mul_f64_e32 v[93:94], s[16:17], v[89:90]
	v_fma_f64 v[93:94], v[91:92], s[12:13], v[93:94]
	v_mul_f64_e32 v[91:92], s[18:19], v[91:92]
	s_delay_alu instid0(VALU_DEP_1) | instskip(SKIP_2) | instid1(VALU_DEP_2)
	v_fma_f64 v[95:96], v[89:90], s[12:13], v[91:92]
	v_fma_f64 v[89:90], v[167:168], s[18:19], v[155:156]
	;; [unrolled: 1-line block ×4, first 2 shown]
	s_delay_alu instid0(VALU_DEP_2) | instskip(NEXT) | instid1(VALU_DEP_2)
	v_fma_f64 v[91:92], v[181:182], s[14:15], v[91:92]
	v_fma_f64 v[113:114], v[97:98], s[12:13], v[89:90]
	s_delay_alu instid0(VALU_DEP_2) | instskip(NEXT) | instid1(VALU_DEP_2)
	v_fma_f64 v[115:116], v[99:100], s[12:13], v[91:92]
	v_add_f64_e32 v[89:90], v[113:114], v[93:94]
	v_add_f64_e64 v[93:94], v[113:114], -v[93:94]
	v_fma_f64 v[113:114], v[167:168], s[16:17], v[155:156]
	s_delay_alu instid0(VALU_DEP_4) | instskip(SKIP_1) | instid1(VALU_DEP_3)
	v_add_f64_e32 v[91:92], v[115:116], v[95:96]
	v_add_f64_e64 v[95:96], v[115:116], -v[95:96]
	v_fma_f64 v[113:114], v[179:180], s[14:15], v[113:114]
	s_delay_alu instid0(VALU_DEP_1) | instskip(SKIP_1) | instid1(VALU_DEP_1)
	v_fma_f64 v[113:114], v[97:98], s[12:13], v[113:114]
	v_fma_f64 v[97:98], v[169:170], s[18:19], v[165:166]
	;; [unrolled: 1-line block ×3, first 2 shown]
	s_delay_alu instid0(VALU_DEP_1) | instskip(SKIP_2) | instid1(VALU_DEP_2)
	v_fma_f64 v[115:116], v[99:100], s[12:13], v[97:98]
	v_fma_f64 v[97:98], v[191:192], s[16:17], v[199:200]
	;; [unrolled: 1-line block ×4, first 2 shown]
	s_delay_alu instid0(VALU_DEP_2) | instskip(NEXT) | instid1(VALU_DEP_2)
	v_fma_f64 v[99:100], v[203:204], s[2:3], v[99:100]
	v_fma_f64 v[97:98], v[101:102], s[12:13], v[97:98]
	s_delay_alu instid0(VALU_DEP_2) | instskip(NEXT) | instid1(VALU_DEP_2)
	v_fma_f64 v[99:100], v[103:104], s[12:13], v[99:100]
	v_mul_f64_e32 v[101:102], s[22:23], v[97:98]
	s_delay_alu instid0(VALU_DEP_1) | instskip(SKIP_1) | instid1(VALU_DEP_1)
	v_fma_f64 v[101:102], v[99:100], s[16:17], v[101:102]
	v_mul_f64_e32 v[99:100], s[22:23], v[99:100]
	v_fma_f64 v[103:104], v[97:98], s[18:19], v[99:100]
	s_delay_alu instid0(VALU_DEP_3) | instskip(SKIP_2) | instid1(VALU_DEP_4)
	v_add_f64_e32 v[97:98], v[113:114], v[101:102]
	v_add_f64_e64 v[101:102], v[113:114], -v[101:102]
	v_fma_f64 v[113:114], v[237:238], s[18:19], v[215:216]
	v_add_f64_e32 v[99:100], v[115:116], v[103:104]
	v_add_f64_e64 v[103:104], v[115:116], -v[103:104]
	v_fma_f64 v[115:116], v[179:180], s[18:19], v[153:154]
	s_delay_alu instid0(VALU_DEP_4) | instskip(NEXT) | instid1(VALU_DEP_2)
	v_fma_f64 v[113:114], v[191:192], s[14:15], v[113:114]
	v_fma_f64 v[115:116], v[167:168], s[14:15], v[115:116]
	s_delay_alu instid0(VALU_DEP_2) | instskip(NEXT) | instid1(VALU_DEP_2)
	v_fma_f64 v[109:110], v[109:110], s[12:13], v[113:114]
	v_fma_f64 v[113:114], v[105:106], s[12:13], v[115:116]
	;; [unrolled: 1-line block ×4, first 2 shown]
	s_delay_alu instid0(VALU_DEP_4) | instskip(NEXT) | instid1(VALU_DEP_1)
	v_mul_f64_e32 v[107:108], s[24:25], v[109:110]
	v_fma_f64 v[111:112], v[105:106], s[2:3], v[107:108]
	v_mul_f64_e32 v[105:106], s[24:25], v[105:106]
	s_delay_alu instid0(VALU_DEP_1) | instskip(NEXT) | instid1(VALU_DEP_3)
	v_fma_f64 v[117:118], v[109:110], s[14:15], v[105:106]
	v_add_f64_e32 v[105:106], v[113:114], v[111:112]
	v_add_f64_e64 v[109:110], v[113:114], -v[111:112]
	v_or_b32_e32 v114, 0x100, v255
	v_or_b32_e32 v113, 0x180, v255
	v_add_f64_e32 v[107:108], v[115:116], v[117:118]
	v_add_f64_e64 v[111:112], v[115:116], -v[117:118]
	v_or_b32_e32 v115, 0x80, v255
	s_delay_alu instid0(VALU_DEP_1) | instskip(NEXT) | instid1(VALU_DEP_1)
	v_mul_u32_u24_e32 v0, 10, v115
	v_lshlrev_b32_e32 v0, 4, v0
	scratch_store_b32 off, v0, off offset:492 ; 4-byte Folded Spill
	ds_store_b128 v0, v[5:8]
	ds_store_b128 v0, v[29:32] offset:16
	ds_store_b128 v0, v[57:60] offset:32
	;; [unrolled: 1-line block ×9, first 2 shown]
	v_mul_u32_u24_e32 v0, 10, v114
	s_delay_alu instid0(VALU_DEP_1)
	v_lshlrev_b32_e32 v0, 4, v0
	scratch_store_b32 off, v0, off offset:488 ; 4-byte Folded Spill
	ds_store_b128 v0, v[13:16]
	ds_store_b128 v0, v[81:84] offset:16
	ds_store_b128 v0, v[89:92] offset:32
	;; [unrolled: 1-line block ×9, first 2 shown]
	v_mul_lo_u16 v0, 0x67, v255
	global_wb scope:SCOPE_SE
	s_wait_storecnt_dscnt 0x0
	s_barrier_signal -1
	s_barrier_wait -1
	global_inv scope:SCOPE_SE
	v_lshrrev_b16 v170, 10, v0
	ds_load_b128 v[1:4], v253 offset:10240
	v_mul_lo_u16 v0, v170, 10
	s_delay_alu instid0(VALU_DEP_1) | instskip(NEXT) | instid1(VALU_DEP_1)
	v_sub_nc_u16 v0, v255, v0
	v_and_b32_e32 v171, 0xff, v0
	s_delay_alu instid0(VALU_DEP_1)
	v_mad_co_u64_u32 v[5:6], null, 0x50, v171, s[10:11]
	global_load_b128 v[9:12], v[5:6], off
	s_wait_loadcnt_dscnt 0x0
	v_mul_f64_e32 v[7:8], v[3:4], v[11:12]
	scratch_store_b128 off, v[9:12], off offset:496 ; 16-byte Folded Spill
	v_fma_f64 v[41:42], v[1:2], v[9:10], -v[7:8]
	v_mul_f64_e32 v[0:1], v[1:2], v[11:12]
	s_delay_alu instid0(VALU_DEP_1)
	v_fma_f64 v[43:44], v[3:4], v[9:10], v[0:1]
	global_load_b128 v[9:12], v[5:6], off offset:16
	ds_load_b128 v[1:4], v253 offset:20480
	s_wait_loadcnt_dscnt 0x0
	v_mul_f64_e32 v[7:8], v[3:4], v[11:12]
	scratch_store_b128 off, v[9:12], off offset:512 ; 16-byte Folded Spill
	v_fma_f64 v[45:46], v[1:2], v[9:10], -v[7:8]
	v_mul_f64_e32 v[0:1], v[1:2], v[11:12]
	s_delay_alu instid0(VALU_DEP_1)
	v_fma_f64 v[47:48], v[3:4], v[9:10], v[0:1]
	global_load_b128 v[9:12], v[5:6], off offset:32
	ds_load_b128 v[1:4], v253 offset:30720
	s_wait_loadcnt 0x0
	scratch_store_b128 off, v[9:12], off offset:528 ; 16-byte Folded Spill
	s_wait_dscnt 0x0
	v_mul_f64_e32 v[7:8], v[3:4], v[11:12]
	s_delay_alu instid0(VALU_DEP_1) | instskip(SKIP_1) | instid1(VALU_DEP_1)
	v_fma_f64 v[51:52], v[1:2], v[9:10], -v[7:8]
	v_mul_f64_e32 v[0:1], v[1:2], v[11:12]
	v_fma_f64 v[49:50], v[3:4], v[9:10], v[0:1]
	global_load_b128 v[9:12], v[5:6], off offset:48
	ds_load_b128 v[1:4], v253 offset:40960
	s_wait_loadcnt_dscnt 0x0
	v_mul_f64_e32 v[7:8], v[3:4], v[11:12]
	scratch_store_b128 off, v[9:12], off offset:544 ; 16-byte Folded Spill
	v_fma_f64 v[53:54], v[1:2], v[9:10], -v[7:8]
	v_mul_f64_e32 v[0:1], v[1:2], v[11:12]
	s_delay_alu instid0(VALU_DEP_1)
	v_fma_f64 v[55:56], v[3:4], v[9:10], v[0:1]
	global_load_b128 v[7:10], v[5:6], off offset:64
	ds_load_b128 v[1:4], v253 offset:51200
	s_wait_loadcnt 0x0
	scratch_store_b128 off, v[7:10], off offset:560 ; 16-byte Folded Spill
	s_wait_dscnt 0x0
	v_mul_f64_e32 v[5:6], v[3:4], v[9:10]
	s_delay_alu instid0(VALU_DEP_1) | instskip(SKIP_1) | instid1(VALU_DEP_1)
	v_fma_f64 v[59:60], v[1:2], v[7:8], -v[5:6]
	v_mul_f64_e32 v[0:1], v[1:2], v[9:10]
	v_fma_f64 v[57:58], v[3:4], v[7:8], v[0:1]
	v_mul_lo_u16 v0, 0xcd, v115
	ds_load_b128 v[1:4], v253 offset:12288
	v_lshrrev_b16 v162, 11, v0
	s_delay_alu instid0(VALU_DEP_1) | instskip(NEXT) | instid1(VALU_DEP_1)
	v_mul_lo_u16 v0, v162, 10
	v_sub_nc_u16 v0, v115, v0
	s_delay_alu instid0(VALU_DEP_1) | instskip(NEXT) | instid1(VALU_DEP_1)
	v_and_b32_e32 v163, 0xff, v0
	v_mad_co_u64_u32 v[5:6], null, 0x50, v163, s[10:11]
	global_load_b128 v[9:12], v[5:6], off
	s_wait_loadcnt_dscnt 0x0
	v_mul_f64_e32 v[7:8], v[3:4], v[11:12]
	scratch_store_b128 off, v[9:12], off offset:576 ; 16-byte Folded Spill
	v_fma_f64 v[61:62], v[1:2], v[9:10], -v[7:8]
	v_mul_f64_e32 v[0:1], v[1:2], v[11:12]
	s_delay_alu instid0(VALU_DEP_1)
	v_fma_f64 v[63:64], v[3:4], v[9:10], v[0:1]
	global_load_b128 v[9:12], v[5:6], off offset:16
	ds_load_b128 v[1:4], v253 offset:22528
	s_wait_loadcnt 0x0
	scratch_store_b128 off, v[9:12], off offset:592 ; 16-byte Folded Spill
	s_wait_dscnt 0x0
	v_mul_f64_e32 v[7:8], v[3:4], v[11:12]
	s_delay_alu instid0(VALU_DEP_1) | instskip(SKIP_1) | instid1(VALU_DEP_1)
	v_fma_f64 v[65:66], v[1:2], v[9:10], -v[7:8]
	v_mul_f64_e32 v[0:1], v[1:2], v[11:12]
	v_fma_f64 v[67:68], v[3:4], v[9:10], v[0:1]
	global_load_b128 v[9:12], v[5:6], off offset:32
	ds_load_b128 v[1:4], v253 offset:32768
	s_wait_loadcnt_dscnt 0x0
	v_mul_f64_e32 v[7:8], v[3:4], v[11:12]
	scratch_store_b128 off, v[9:12], off offset:608 ; 16-byte Folded Spill
	v_fma_f64 v[71:72], v[1:2], v[9:10], -v[7:8]
	v_mul_f64_e32 v[0:1], v[1:2], v[11:12]
	s_delay_alu instid0(VALU_DEP_1)
	v_fma_f64 v[69:70], v[3:4], v[9:10], v[0:1]
	global_load_b128 v[9:12], v[5:6], off offset:48
	ds_load_b128 v[1:4], v253 offset:43008
	s_wait_loadcnt 0x0
	scratch_store_b128 off, v[9:12], off offset:624 ; 16-byte Folded Spill
	s_wait_dscnt 0x0
	v_mul_f64_e32 v[7:8], v[3:4], v[11:12]
	s_delay_alu instid0(VALU_DEP_1) | instskip(SKIP_1) | instid1(VALU_DEP_1)
	v_fma_f64 v[73:74], v[1:2], v[9:10], -v[7:8]
	v_mul_f64_e32 v[0:1], v[1:2], v[11:12]
	v_fma_f64 v[75:76], v[3:4], v[9:10], v[0:1]
	global_load_b128 v[7:10], v[5:6], off offset:64
	ds_load_b128 v[1:4], v253 offset:53248
	s_wait_loadcnt_dscnt 0x0
	v_mul_f64_e32 v[5:6], v[3:4], v[9:10]
	scratch_store_b128 off, v[7:10], off offset:644 ; 16-byte Folded Spill
	v_fma_f64 v[111:112], v[1:2], v[7:8], -v[5:6]
	v_mul_f64_e32 v[0:1], v[1:2], v[9:10]
	s_delay_alu instid0(VALU_DEP_1) | instskip(SKIP_3) | instid1(VALU_DEP_1)
	v_fma_f64 v[103:104], v[3:4], v[7:8], v[0:1]
	v_mul_u32_u24_e32 v0, 0x199a, v114
	ds_load_b128 v[1:4], v253 offset:14336
	v_lshrrev_b32_e32 v164, 16, v0
	v_mul_lo_u16 v0, v164, 10
	s_delay_alu instid0(VALU_DEP_1) | instskip(NEXT) | instid1(VALU_DEP_1)
	v_sub_nc_u16 v165, v114, v0
	v_mul_lo_u16 v0, 0x50, v165
	s_delay_alu instid0(VALU_DEP_1) | instskip(NEXT) | instid1(VALU_DEP_1)
	v_and_b32_e32 v0, 0xffff, v0
	v_add_co_u32 v5, s26, s10, v0
	s_delay_alu instid0(VALU_DEP_1)
	v_add_co_ci_u32_e64 v6, null, s11, 0, s26
	global_load_b128 v[9:12], v[5:6], off
	s_wait_loadcnt 0x0
	scratch_store_b128 off, v[9:12], off offset:660 ; 16-byte Folded Spill
	s_wait_dscnt 0x0
	v_mul_f64_e32 v[7:8], v[3:4], v[11:12]
	s_delay_alu instid0(VALU_DEP_1) | instskip(SKIP_1) | instid1(VALU_DEP_1)
	v_fma_f64 v[77:78], v[1:2], v[9:10], -v[7:8]
	v_mul_f64_e32 v[0:1], v[1:2], v[11:12]
	v_fma_f64 v[79:80], v[3:4], v[9:10], v[0:1]
	global_load_b128 v[9:12], v[5:6], off offset:16
	ds_load_b128 v[1:4], v253 offset:24576
	s_wait_loadcnt_dscnt 0x0
	v_mul_f64_e32 v[7:8], v[3:4], v[11:12]
	scratch_store_b128 off, v[9:12], off offset:676 ; 16-byte Folded Spill
	v_fma_f64 v[83:84], v[1:2], v[9:10], -v[7:8]
	v_mul_f64_e32 v[0:1], v[1:2], v[11:12]
	s_delay_alu instid0(VALU_DEP_1)
	v_fma_f64 v[85:86], v[3:4], v[9:10], v[0:1]
	global_load_b128 v[9:12], v[5:6], off offset:32
	ds_load_b128 v[1:4], v253 offset:34816
	s_wait_loadcnt 0x0
	scratch_store_b128 off, v[9:12], off offset:692 ; 16-byte Folded Spill
	s_wait_dscnt 0x0
	v_mul_f64_e32 v[7:8], v[3:4], v[11:12]
	s_delay_alu instid0(VALU_DEP_1) | instskip(SKIP_1) | instid1(VALU_DEP_1)
	v_fma_f64 v[95:96], v[1:2], v[9:10], -v[7:8]
	v_mul_f64_e32 v[0:1], v[1:2], v[11:12]
	v_fma_f64 v[91:92], v[3:4], v[9:10], v[0:1]
	global_load_b128 v[9:12], v[5:6], off offset:48
	ds_load_b128 v[1:4], v253 offset:45056
	s_wait_loadcnt_dscnt 0x0
	v_mul_f64_e32 v[7:8], v[3:4], v[11:12]
	scratch_store_b128 off, v[9:12], off offset:708 ; 16-byte Folded Spill
	v_fma_f64 v[99:100], v[1:2], v[9:10], -v[7:8]
	v_mul_f64_e32 v[0:1], v[1:2], v[11:12]
	s_delay_alu instid0(VALU_DEP_1)
	v_fma_f64 v[109:110], v[3:4], v[9:10], v[0:1]
	global_load_b128 v[7:10], v[5:6], off offset:64
	ds_load_b128 v[1:4], v253 offset:55296
	s_wait_loadcnt 0x0
	scratch_store_b128 off, v[7:10], off offset:724 ; 16-byte Folded Spill
	s_wait_dscnt 0x0
	v_mul_f64_e32 v[5:6], v[3:4], v[9:10]
	s_delay_alu instid0(VALU_DEP_1) | instskip(SKIP_1) | instid1(VALU_DEP_1)
	v_fma_f64 v[126:127], v[1:2], v[7:8], -v[5:6]
	v_mul_f64_e32 v[0:1], v[1:2], v[9:10]
	v_fma_f64 v[120:121], v[3:4], v[7:8], v[0:1]
	v_mul_u32_u24_e32 v0, 0x199a, v113
	ds_load_b128 v[1:4], v253 offset:16384
	v_lshrrev_b32_e32 v166, 16, v0
	s_delay_alu instid0(VALU_DEP_1) | instskip(NEXT) | instid1(VALU_DEP_1)
	v_mul_lo_u16 v0, v166, 10
	v_sub_nc_u16 v167, v113, v0
	s_delay_alu instid0(VALU_DEP_1) | instskip(NEXT) | instid1(VALU_DEP_1)
	v_mul_lo_u16 v0, 0x50, v167
	v_and_b32_e32 v0, 0xffff, v0
	s_delay_alu instid0(VALU_DEP_1)
	v_add_co_u32 v5, s26, s10, v0
	s_wait_alu 0xf1ff
	v_add_co_ci_u32_e64 v6, null, s11, 0, s26
	global_load_b128 v[9:12], v[5:6], off
	s_wait_loadcnt_dscnt 0x0
	v_mul_f64_e32 v[7:8], v[3:4], v[11:12]
	scratch_store_b128 off, v[9:12], off offset:740 ; 16-byte Folded Spill
	v_fma_f64 v[81:82], v[1:2], v[9:10], -v[7:8]
	v_mul_f64_e32 v[0:1], v[1:2], v[11:12]
	s_delay_alu instid0(VALU_DEP_1)
	v_fma_f64 v[87:88], v[3:4], v[9:10], v[0:1]
	global_load_b128 v[9:12], v[5:6], off offset:16
	ds_load_b128 v[1:4], v253 offset:26624
	s_wait_loadcnt 0x0
	scratch_store_b128 off, v[9:12], off offset:756 ; 16-byte Folded Spill
	s_wait_dscnt 0x0
	v_mul_f64_e32 v[7:8], v[3:4], v[11:12]
	s_delay_alu instid0(VALU_DEP_1) | instskip(SKIP_1) | instid1(VALU_DEP_1)
	v_fma_f64 v[93:94], v[1:2], v[9:10], -v[7:8]
	v_mul_f64_e32 v[0:1], v[1:2], v[11:12]
	v_fma_f64 v[97:98], v[3:4], v[9:10], v[0:1]
	global_load_b128 v[9:12], v[5:6], off offset:32
	ds_load_b128 v[1:4], v253 offset:36864
	s_wait_loadcnt_dscnt 0x0
	v_mul_f64_e32 v[7:8], v[3:4], v[11:12]
	scratch_store_b128 off, v[9:12], off offset:772 ; 16-byte Folded Spill
	v_fma_f64 v[116:117], v[1:2], v[9:10], -v[7:8]
	v_mul_f64_e32 v[0:1], v[1:2], v[11:12]
	s_delay_alu instid0(VALU_DEP_1)
	v_fma_f64 v[105:106], v[3:4], v[9:10], v[0:1]
	global_load_b128 v[9:12], v[5:6], off offset:48
	ds_load_b128 v[1:4], v253 offset:47104
	s_wait_loadcnt 0x0
	scratch_store_b128 off, v[9:12], off offset:788 ; 16-byte Folded Spill
	s_wait_dscnt 0x0
	v_mul_f64_e32 v[7:8], v[3:4], v[11:12]
	s_delay_alu instid0(VALU_DEP_1) | instskip(SKIP_1) | instid1(VALU_DEP_1)
	v_fma_f64 v[122:123], v[1:2], v[9:10], -v[7:8]
	v_mul_f64_e32 v[0:1], v[1:2], v[11:12]
	v_fma_f64 v[128:129], v[3:4], v[9:10], v[0:1]
	global_load_b128 v[7:10], v[5:6], off offset:64
	ds_load_b128 v[1:4], v253 offset:57344
	s_wait_loadcnt_dscnt 0x0
	v_mul_f64_e32 v[5:6], v[3:4], v[9:10]
	scratch_store_b128 off, v[7:10], off offset:804 ; 16-byte Folded Spill
	v_fma_f64 v[136:137], v[1:2], v[7:8], -v[5:6]
	v_mul_f64_e32 v[0:1], v[1:2], v[9:10]
	s_delay_alu instid0(VALU_DEP_1) | instskip(SKIP_3) | instid1(VALU_DEP_1)
	v_fma_f64 v[132:133], v[3:4], v[7:8], v[0:1]
	v_mul_u32_u24_e32 v0, 0x199a, v161
	ds_load_b128 v[1:4], v253 offset:18432
	v_lshrrev_b32_e32 v168, 16, v0
	v_mul_lo_u16 v0, v168, 10
	s_delay_alu instid0(VALU_DEP_1) | instskip(NEXT) | instid1(VALU_DEP_1)
	v_sub_nc_u16 v169, v161, v0
	v_mul_lo_u16 v0, 0x50, v169
	s_delay_alu instid0(VALU_DEP_1) | instskip(NEXT) | instid1(VALU_DEP_1)
	v_and_b32_e32 v0, 0xffff, v0
	v_add_co_u32 v5, s26, s10, v0
	s_wait_alu 0xf1ff
	v_add_co_ci_u32_e64 v6, null, s11, 0, s26
	s_mov_b32 s26, 0xe8584caa
	s_mov_b32 s27, 0x3febb67a
	s_wait_alu 0xfffe
	s_mov_b32 s28, s26
	global_load_b128 v[9:12], v[5:6], off
	s_wait_loadcnt 0x0
	scratch_store_b128 off, v[9:12], off offset:820 ; 16-byte Folded Spill
	s_wait_dscnt 0x0
	v_mul_f64_e32 v[7:8], v[3:4], v[11:12]
	s_delay_alu instid0(VALU_DEP_1) | instskip(SKIP_1) | instid1(VALU_DEP_1)
	v_fma_f64 v[89:90], v[1:2], v[9:10], -v[7:8]
	v_mul_f64_e32 v[0:1], v[1:2], v[11:12]
	v_fma_f64 v[101:102], v[3:4], v[9:10], v[0:1]
	global_load_b128 v[9:12], v[5:6], off offset:16
	ds_load_b128 v[1:4], v253 offset:28672
	s_wait_loadcnt_dscnt 0x0
	v_mul_f64_e32 v[7:8], v[3:4], v[11:12]
	scratch_store_b128 off, v[9:12], off offset:836 ; 16-byte Folded Spill
	v_fma_f64 v[107:108], v[1:2], v[9:10], -v[7:8]
	v_mul_f64_e32 v[0:1], v[1:2], v[11:12]
	s_delay_alu instid0(VALU_DEP_1)
	v_fma_f64 v[118:119], v[3:4], v[9:10], v[0:1]
	global_load_b128 v[9:12], v[5:6], off offset:32
	ds_load_b128 v[1:4], v253 offset:38912
	s_wait_loadcnt 0x0
	scratch_store_b128 off, v[9:12], off offset:852 ; 16-byte Folded Spill
	s_wait_dscnt 0x0
	v_mul_f64_e32 v[7:8], v[3:4], v[11:12]
	s_delay_alu instid0(VALU_DEP_1) | instskip(SKIP_1) | instid1(VALU_DEP_1)
	v_fma_f64 v[130:131], v[1:2], v[9:10], -v[7:8]
	v_mul_f64_e32 v[0:1], v[1:2], v[11:12]
	v_fma_f64 v[124:125], v[3:4], v[9:10], v[0:1]
	global_load_b128 v[9:12], v[5:6], off offset:48
	ds_load_b128 v[1:4], v253 offset:49152
	s_wait_loadcnt_dscnt 0x0
	v_mul_f64_e32 v[7:8], v[3:4], v[11:12]
	scratch_store_b128 off, v[9:12], off offset:868 ; 16-byte Folded Spill
	v_fma_f64 v[134:135], v[1:2], v[9:10], -v[7:8]
	v_mul_f64_e32 v[0:1], v[1:2], v[11:12]
	s_delay_alu instid0(VALU_DEP_1)
	v_fma_f64 v[138:139], v[3:4], v[9:10], v[0:1]
	global_load_b128 v[7:10], v[5:6], off offset:64
	ds_load_b128 v[1:4], v253 offset:59392
	s_wait_loadcnt 0x0
	scratch_store_b128 off, v[7:10], off offset:884 ; 16-byte Folded Spill
	s_wait_dscnt 0x0
	v_mul_f64_e32 v[5:6], v[3:4], v[9:10]
	s_delay_alu instid0(VALU_DEP_1) | instskip(SKIP_2) | instid1(VALU_DEP_2)
	v_fma_f64 v[142:143], v[1:2], v[7:8], -v[5:6]
	v_mul_f64_e32 v[0:1], v[1:2], v[9:10]
	v_add_f64_e32 v[5:6], v[45:46], v[53:54]
	v_fma_f64 v[140:141], v[3:4], v[7:8], v[0:1]
	ds_load_b128 v[1:4], v253
	s_wait_dscnt 0x0
	v_fma_f64 v[156:157], v[5:6], -0.5, v[1:2]
	v_add_f64_e32 v[5:6], v[47:48], v[55:56]
	v_add_f64_e32 v[0:1], v[1:2], v[45:46]
	v_add_f64_e64 v[45:46], v[45:46], -v[53:54]
	s_delay_alu instid0(VALU_DEP_3)
	v_fma_f64 v[158:159], v[5:6], -0.5, v[3:4]
	v_add_f64_e32 v[2:3], v[3:4], v[47:48]
	v_add_f64_e32 v[4:5], v[41:42], v[51:52]
	;; [unrolled: 1-line block ×4, first 2 shown]
	v_add_f64_e64 v[47:48], v[47:48], -v[55:56]
	v_add_f64_e32 v[2:3], v[2:3], v[55:56]
	v_add_f64_e32 v[4:5], v[4:5], v[59:60]
	;; [unrolled: 1-line block ×3, first 2 shown]
	v_fma_f64 v[55:56], v[45:46], s[28:29], v[158:159]
	v_fma_f64 v[53:54], v[47:48], s[26:27], v[156:157]
	;; [unrolled: 1-line block ×3, first 2 shown]
	v_add_f64_e32 v[29:30], v[0:1], v[4:5]
	v_add_f64_e32 v[31:32], v[2:3], v[6:7]
	v_add_f64_e64 v[25:26], v[0:1], -v[4:5]
	v_add_f64_e64 v[27:28], v[2:3], -v[6:7]
	v_add_f64_e32 v[5:6], v[65:66], v[73:74]
	ds_load_b128 v[1:4], v253 offset:2048
	s_wait_dscnt 0x0
	v_fma_f64 v[152:153], v[5:6], -0.5, v[1:2]
	v_add_f64_e32 v[5:6], v[67:68], v[75:76]
	v_add_f64_e32 v[0:1], v[1:2], v[65:66]
	v_add_f64_e64 v[65:66], v[65:66], -v[73:74]
	s_delay_alu instid0(VALU_DEP_3)
	v_fma_f64 v[154:155], v[5:6], -0.5, v[3:4]
	v_add_f64_e32 v[2:3], v[3:4], v[67:68]
	v_add_f64_e32 v[4:5], v[61:62], v[71:72]
	;; [unrolled: 1-line block ×4, first 2 shown]
	v_add_f64_e64 v[73:74], v[95:96], -v[126:127]
	v_add_f64_e32 v[2:3], v[2:3], v[75:76]
	v_add_f64_e32 v[4:5], v[4:5], v[111:112]
	;; [unrolled: 1-line block ×3, first 2 shown]
	s_delay_alu instid0(VALU_DEP_2) | instskip(NEXT) | instid1(VALU_DEP_2)
	v_add_f64_e32 v[21:22], v[0:1], v[4:5]
	v_add_f64_e32 v[23:24], v[2:3], v[6:7]
	v_add_f64_e64 v[17:18], v[0:1], -v[4:5]
	v_add_f64_e64 v[19:20], v[2:3], -v[6:7]
	v_add_f64_e32 v[5:6], v[83:84], v[99:100]
	ds_load_b128 v[1:4], v253 offset:4096
	s_wait_dscnt 0x0
	v_fma_f64 v[148:149], v[5:6], -0.5, v[1:2]
	v_add_f64_e32 v[5:6], v[85:86], v[109:110]
	v_add_f64_e32 v[0:1], v[1:2], v[83:84]
	v_add_f64_e64 v[83:84], v[83:84], -v[99:100]
	s_delay_alu instid0(VALU_DEP_3)
	v_fma_f64 v[150:151], v[5:6], -0.5, v[3:4]
	v_add_f64_e32 v[2:3], v[3:4], v[85:86]
	v_add_f64_e32 v[4:5], v[77:78], v[95:96]
	;; [unrolled: 1-line block ×4, first 2 shown]
	v_add_f64_e64 v[99:100], v[105:106], -v[132:133]
	v_add_f64_e32 v[2:3], v[2:3], v[109:110]
	v_add_f64_e32 v[4:5], v[4:5], v[126:127]
	;; [unrolled: 1-line block ×3, first 2 shown]
	s_delay_alu instid0(VALU_DEP_2) | instskip(NEXT) | instid1(VALU_DEP_2)
	v_add_f64_e32 v[13:14], v[0:1], v[4:5]
	v_add_f64_e32 v[15:16], v[2:3], v[6:7]
	v_add_f64_e64 v[9:10], v[0:1], -v[4:5]
	v_add_f64_e64 v[11:12], v[2:3], -v[6:7]
	v_add_f64_e32 v[5:6], v[93:94], v[122:123]
	ds_load_b128 v[1:4], v253 offset:6144
	s_wait_dscnt 0x0
	v_fma_f64 v[144:145], v[5:6], -0.5, v[1:2]
	v_add_f64_e32 v[5:6], v[97:98], v[128:129]
	v_add_f64_e32 v[0:1], v[1:2], v[93:94]
	v_add_f64_e64 v[93:94], v[93:94], -v[122:123]
	s_delay_alu instid0(VALU_DEP_3) | instskip(SKIP_4) | instid1(VALU_DEP_4)
	v_fma_f64 v[146:147], v[5:6], -0.5, v[3:4]
	v_add_f64_e32 v[5:6], v[81:82], v[116:117]
	v_add_f64_e32 v[2:3], v[3:4], v[97:98]
	;; [unrolled: 1-line block ×3, first 2 shown]
	v_add_f64_e64 v[97:98], v[97:98], -v[128:129]
	v_add_f64_e32 v[33:34], v[5:6], v[136:137]
	v_add_f64_e32 v[5:6], v[87:88], v[105:106]
	;; [unrolled: 1-line block ×3, first 2 shown]
	v_or_b32_e32 v129, 0x580, v255
	s_delay_alu instid0(VALU_DEP_3) | instskip(SKIP_4) | instid1(VALU_DEP_2)
	v_add_f64_e32 v[35:36], v[5:6], v[132:133]
	v_add_f64_e32 v[5:6], v[0:1], v[33:34]
	v_add_f64_e64 v[1:2], v[0:1], -v[33:34]
	v_and_b32_e32 v0, 0xffff, v170
	v_add_f64_e32 v[33:34], v[107:108], v[134:135]
	v_mul_u32_u24_e32 v0, 60, v0
	s_delay_alu instid0(VALU_DEP_1)
	v_add_lshl_u32 v0, v0, v171, 4
	v_add_f64_e32 v[7:8], v[3:4], v[35:36]
	v_add_f64_e64 v[3:4], v[3:4], -v[35:36]
	ds_load_b128 v[35:38], v253 offset:8192
	global_wb scope:SCOPE_SE
	s_wait_storecnt_dscnt 0x0
	s_barrier_signal -1
	s_barrier_wait -1
	global_inv scope:SCOPE_SE
	ds_store_b128 v0, v[29:32]
	ds_store_b128 v0, v[25:28] offset:480
	v_add_f64_e32 v[25:26], v[51:52], v[59:60]
	v_add_f64_e32 v[27:28], v[49:50], v[57:58]
	v_add_f64_e64 v[49:50], v[49:50], -v[57:58]
	v_add_f64_e64 v[51:52], v[51:52], -v[59:60]
	;; [unrolled: 1-line block ×3, first 2 shown]
	v_fma_f64 v[172:173], v[33:34], -0.5, v[35:36]
	v_add_f64_e32 v[33:34], v[118:119], v[138:139]
	v_fma_f64 v[41:42], v[25:26], -0.5, v[41:42]
	v_fma_f64 v[43:44], v[27:28], -0.5, v[43:44]
	s_delay_alu instid0(VALU_DEP_3)
	v_fma_f64 v[174:175], v[33:34], -0.5, v[37:38]
	v_add_f64_e32 v[33:34], v[35:36], v[107:108]
	v_add_f64_e32 v[35:36], v[37:38], v[118:119]
	v_add_f64_e64 v[107:108], v[107:108], -v[134:135]
	v_fma_f64 v[27:28], v[49:50], s[26:27], v[41:42]
	v_fma_f64 v[41:42], v[49:50], s[28:29], v[41:42]
	;; [unrolled: 1-line block ×5, first 2 shown]
	v_add_f64_e32 v[37:38], v[33:34], v[134:135]
	v_add_f64_e32 v[33:34], v[89:90], v[130:131]
	v_fma_f64 v[122:123], v[107:108], s[28:29], v[174:175]
	v_add_f64_e32 v[39:40], v[35:36], v[138:139]
	v_or_b32_e32 v135, 0x700, v255
	v_mul_f64_e32 v[45:46], -0.5, v[41:42]
	v_mul_f64_e32 v[29:30], s[26:27], v[25:26]
	v_add_f64_e32 v[176:177], v[33:34], v[142:143]
	v_add_f64_e32 v[33:34], v[101:102], v[124:125]
	s_delay_alu instid0(VALU_DEP_4)
	v_fma_f64 v[45:46], v[43:44], s[26:27], v[45:46]
	v_mul_f64_e32 v[43:44], -0.5, v[43:44]
	v_fma_f64 v[29:30], v[27:28], 0.5, v[29:30]
	v_mul_f64_e32 v[27:28], s[28:29], v[27:28]
	v_add_f64_e32 v[178:179], v[33:34], v[140:141]
	v_add_f64_e32 v[33:34], v[37:38], v[176:177]
	v_add_f64_e64 v[37:38], v[37:38], -v[176:177]
	v_fma_f64 v[51:52], v[41:42], s[28:29], v[43:44]
	v_add_f64_e32 v[41:42], v[47:48], v[45:46]
	v_add_f64_e64 v[45:46], v[47:48], -v[45:46]
	v_fma_f64 v[31:32], v[25:26], 0.5, v[27:28]
	v_add_f64_e32 v[25:26], v[53:54], v[29:30]
	v_add_f64_e64 v[29:30], v[53:54], -v[29:30]
	v_add_f64_e32 v[35:36], v[39:40], v[178:179]
	v_add_f64_e64 v[39:40], v[39:40], -v[178:179]
	;; [unrolled: 2-line block ×3, first 2 shown]
	v_add_f64_e32 v[49:50], v[71:72], v[111:112]
	v_add_f64_e32 v[51:52], v[69:70], v[103:104]
	;; [unrolled: 1-line block ×3, first 2 shown]
	v_add_f64_e64 v[31:32], v[55:56], -v[31:32]
	v_fma_f64 v[71:72], v[65:66], s[28:29], v[154:155]
	v_fma_f64 v[65:66], v[65:66], s[26:27], v[154:155]
	ds_store_b128 v0, v[25:28] offset:160
	ds_store_b128 v0, v[41:44] offset:320
	v_fma_f64 v[59:60], v[51:52], -0.5, v[63:64]
	v_add_f64_e64 v[63:64], v[67:68], -v[75:76]
	v_add_f64_e64 v[67:68], v[69:70], -v[103:104]
	v_fma_f64 v[61:62], v[49:50], -0.5, v[61:62]
	scratch_store_b32 off, v0, off offset:1040 ; 4-byte Folded Spill
	ds_store_b128 v0, v[29:32] offset:640
	ds_store_b128 v0, v[45:48] offset:800
	v_and_b32_e32 v0, 0xffff, v162
	s_delay_alu instid0(VALU_DEP_1) | instskip(NEXT) | instid1(VALU_DEP_1)
	v_mul_u32_u24_e32 v0, 60, v0
	v_add_lshl_u32 v0, v0, v163, 4
	scratch_store_b32 off, v0, off offset:908 ; 4-byte Folded Spill
	v_fma_f64 v[49:50], v[57:58], s[28:29], v[59:60]
	v_fma_f64 v[57:58], v[57:58], s[26:27], v[59:60]
	;; [unrolled: 1-line block ×6, first 2 shown]
	v_mul_f64_e32 v[53:54], s[26:27], v[49:50]
	s_delay_alu instid0(VALU_DEP_3) | instskip(NEXT) | instid1(VALU_DEP_2)
	v_mul_f64_e32 v[59:60], -0.5, v[61:62]
	v_fma_f64 v[53:54], v[51:52], 0.5, v[53:54]
	v_mul_f64_e32 v[51:52], s[28:29], v[51:52]
	s_delay_alu instid0(VALU_DEP_3) | instskip(SKIP_1) | instid1(VALU_DEP_3)
	v_fma_f64 v[67:68], v[57:58], s[26:27], v[59:60]
	v_mul_f64_e32 v[57:58], -0.5, v[57:58]
	v_fma_f64 v[55:56], v[49:50], 0.5, v[51:52]
	v_add_f64_e32 v[49:50], v[69:70], v[53:54]
	v_add_f64_e64 v[53:54], v[69:70], -v[53:54]
	s_delay_alu instid0(VALU_DEP_4)
	v_fma_f64 v[69:70], v[61:62], s[28:29], v[57:58]
	v_add_f64_e32 v[57:58], v[63:64], v[67:68]
	v_add_f64_e64 v[61:62], v[63:64], -v[67:68]
	v_add_f64_e32 v[67:68], v[91:92], v[120:121]
	v_add_f64_e32 v[51:52], v[71:72], v[55:56]
	v_add_f64_e64 v[55:56], v[71:72], -v[55:56]
	v_add_f64_e32 v[59:60], v[65:66], v[69:70]
	v_add_f64_e64 v[63:64], v[65:66], -v[69:70]
	v_add_f64_e32 v[65:66], v[95:96], v[126:127]
	v_fma_f64 v[75:76], v[67:68], -0.5, v[79:80]
	v_add_f64_e64 v[79:80], v[85:86], -v[109:110]
	v_add_f64_e64 v[85:86], v[91:92], -v[120:121]
	v_fma_f64 v[95:96], v[83:84], s[28:29], v[150:151]
	v_fma_f64 v[83:84], v[83:84], s[26:27], v[150:151]
	;; [unrolled: 1-line block ×3, first 2 shown]
	ds_store_b128 v0, v[21:24]
	ds_store_b128 v0, v[49:52] offset:160
	ds_store_b128 v0, v[57:60] offset:320
	;; [unrolled: 1-line block ×5, first 2 shown]
	v_mad_u16 v0, v164, 60, v165
	v_or_b32_e32 v127, 0x500, v255
	v_fma_f64 v[77:78], v[65:66], -0.5, v[77:78]
	v_fma_f64 v[65:66], v[73:74], s[28:29], v[75:76]
	v_fma_f64 v[73:74], v[73:74], s[26:27], v[75:76]
	;; [unrolled: 1-line block ×4, first 2 shown]
	v_and_b32_e32 v0, 0xffff, v0
	s_delay_alu instid0(VALU_DEP_1) | instskip(SKIP_4) | instid1(VALU_DEP_2)
	v_lshlrev_b32_e32 v0, 4, v0
	scratch_store_b32 off, v0, off offset:904 ; 4-byte Folded Spill
	v_fma_f64 v[67:68], v[85:86], s[26:27], v[77:78]
	v_fma_f64 v[77:78], v[85:86], s[28:29], v[77:78]
	v_mul_f64_e32 v[69:70], s[26:27], v[65:66]
	v_mul_f64_e32 v[75:76], -0.5, v[77:78]
	s_delay_alu instid0(VALU_DEP_2) | instskip(SKIP_1) | instid1(VALU_DEP_3)
	v_fma_f64 v[69:70], v[67:68], 0.5, v[69:70]
	v_mul_f64_e32 v[67:68], s[28:29], v[67:68]
	v_fma_f64 v[85:86], v[73:74], s[26:27], v[75:76]
	v_mul_f64_e32 v[73:74], -0.5, v[73:74]
	s_delay_alu instid0(VALU_DEP_3) | instskip(SKIP_2) | instid1(VALU_DEP_4)
	v_fma_f64 v[71:72], v[65:66], 0.5, v[67:68]
	v_add_f64_e32 v[65:66], v[91:92], v[69:70]
	v_add_f64_e64 v[69:70], v[91:92], -v[69:70]
	v_fma_f64 v[91:92], v[77:78], s[28:29], v[73:74]
	v_add_f64_e32 v[73:74], v[79:80], v[85:86]
	v_add_f64_e64 v[77:78], v[79:80], -v[85:86]
	v_add_f64_e32 v[85:86], v[105:106], v[132:133]
	v_add_f64_e32 v[67:68], v[95:96], v[71:72]
	v_add_f64_e64 v[71:72], v[95:96], -v[71:72]
	v_fma_f64 v[105:106], v[97:98], s[26:27], v[144:145]
	v_fma_f64 v[97:98], v[97:98], s[28:29], v[144:145]
	v_mul_u32_u24_e32 v132, 0x889, v129
	v_or_b32_e32 v133, 0x680, v255
	s_delay_alu instid0(VALU_DEP_2)
	v_lshrrev_b32_e32 v153, 17, v132
	v_add_f64_e32 v[75:76], v[83:84], v[91:92]
	v_add_f64_e64 v[79:80], v[83:84], -v[91:92]
	v_add_f64_e32 v[83:84], v[116:117], v[136:137]
	v_add_f64_e64 v[91:92], v[116:117], -v[136:137]
	v_fma_f64 v[95:96], v[85:86], -0.5, v[87:88]
	v_add_f64_e64 v[116:117], v[118:119], -v[138:139]
	v_add_f64_e64 v[118:119], v[124:125], -v[140:141]
	ds_store_b128 v0, v[13:16]
	ds_store_b128 v0, v[65:68] offset:160
	ds_store_b128 v0, v[73:76] offset:320
	;; [unrolled: 1-line block ×5, first 2 shown]
	v_mad_u16 v0, v166, 60, v167
	v_mul_u32_u24_e32 v139, 0x445, v161
	v_or_b32_e32 v138, 0x280, v255
	v_fma_f64 v[103:104], v[83:84], -0.5, v[81:82]
	v_mul_u32_u24_e32 v136, 0x889, v133
	v_fma_f64 v[81:82], v[91:92], s[28:29], v[95:96]
	v_fma_f64 v[91:92], v[91:92], s[26:27], v[95:96]
	;; [unrolled: 1-line block ×4, first 2 shown]
	v_and_b32_e32 v0, 0xffff, v0
	v_lshrrev_b32_e32 v155, 17, v136
	v_mul_u32_u24_e32 v137, 0x889, v135
	s_delay_alu instid0(VALU_DEP_3) | instskip(NEXT) | instid1(VALU_DEP_2)
	v_lshlrev_b32_e32 v0, 4, v0
	v_lshrrev_b32_e32 v156, 17, v137
	scratch_store_b32 off, v0, off offset:900 ; 4-byte Folded Spill
	v_fma_f64 v[83:84], v[99:100], s[26:27], v[103:104]
	v_fma_f64 v[99:100], v[99:100], s[28:29], v[103:104]
	;; [unrolled: 1-line block ×3, first 2 shown]
	v_mul_f64_e32 v[85:86], s[26:27], v[81:82]
	v_lshrrev_b32_e32 v146, 16, v139
	s_delay_alu instid0(VALU_DEP_4) | instskip(NEXT) | instid1(VALU_DEP_3)
	v_mul_f64_e32 v[93:94], -0.5, v[99:100]
	v_fma_f64 v[85:86], v[83:84], 0.5, v[85:86]
	v_mul_f64_e32 v[83:84], s[28:29], v[83:84]
	s_delay_alu instid0(VALU_DEP_3) | instskip(SKIP_1) | instid1(VALU_DEP_3)
	v_fma_f64 v[95:96], v[91:92], s[26:27], v[93:94]
	v_mul_f64_e32 v[91:92], -0.5, v[91:92]
	v_fma_f64 v[87:88], v[81:82], 0.5, v[83:84]
	v_add_f64_e32 v[81:82], v[105:106], v[85:86]
	v_add_f64_e64 v[85:86], v[105:106], -v[85:86]
	s_delay_alu instid0(VALU_DEP_4)
	v_fma_f64 v[99:100], v[99:100], s[28:29], v[91:92]
	v_add_f64_e32 v[91:92], v[97:98], v[95:96]
	v_add_f64_e64 v[95:96], v[97:98], -v[95:96]
	v_add_f64_e32 v[83:84], v[109:110], v[87:88]
	v_add_f64_e64 v[87:88], v[109:110], -v[87:88]
	v_add_f64_e64 v[109:110], v[130:131], -v[142:143]
	v_add_f64_e32 v[93:94], v[103:104], v[99:100]
	v_add_f64_e64 v[97:98], v[103:104], -v[99:100]
	v_add_f64_e32 v[103:104], v[124:125], v[140:141]
	v_add_f64_e32 v[99:100], v[130:131], v[142:143]
	ds_store_b128 v0, v[5:8]
	ds_store_b128 v0, v[81:84] offset:160
	ds_store_b128 v0, v[91:94] offset:320
	ds_store_b128 v0, v[1:4] offset:480
	ds_store_b128 v0, v[85:88] offset:640
	ds_store_b128 v0, v[95:98] offset:800
	v_mad_u16 v0, v168, 60, v169
	v_mul_u32_u24_e32 v141, 0x445, v138
	v_or_b32_e32 v140, 0x300, v255
	v_fma_f64 v[111:112], v[103:104], -0.5, v[101:102]
	v_fma_f64 v[89:90], v[99:100], -0.5, v[89:90]
	v_and_b32_e32 v0, 0xffff, v0
	v_lshrrev_b32_e32 v147, 16, v141
	v_mul_u32_u24_e32 v142, 0x445, v140
	v_or_b32_e32 v125, 0x480, v255
	v_mul_u32_u24_e32 v130, 0x889, v127
	v_lshlrev_b32_e32 v0, 4, v0
	v_or_b32_e32 v131, 0x600, v255
	v_lshrrev_b32_e32 v148, 16, v142
	v_mul_u32_u24_e32 v128, 0x889, v125
	v_lshrrev_b32_e32 v152, 17, v130
	scratch_store_b32 off, v0, off offset:640 ; 4-byte Folded Spill
	v_mul_u32_u24_e32 v134, 0x889, v131
	v_lshrrev_b32_e32 v151, 17, v128
	s_delay_alu instid0(VALU_DEP_2)
	v_lshrrev_b32_e32 v154, 17, v134
	v_fma_f64 v[99:100], v[109:110], s[28:29], v[111:112]
	v_fma_f64 v[101:102], v[118:119], s[26:27], v[89:90]
	v_fma_f64 v[89:90], v[118:119], s[28:29], v[89:90]
	v_fma_f64 v[118:119], v[107:108], s[26:27], v[174:175]
	v_fma_f64 v[107:108], v[109:110], s[26:27], v[111:112]
	v_mul_f64_e32 v[103:104], s[26:27], v[99:100]
	s_delay_alu instid0(VALU_DEP_4) | instskip(NEXT) | instid1(VALU_DEP_2)
	v_mul_f64_e32 v[109:110], -0.5, v[89:90]
	v_fma_f64 v[103:104], v[101:102], 0.5, v[103:104]
	v_mul_f64_e32 v[101:102], s[28:29], v[101:102]
	s_delay_alu instid0(VALU_DEP_3) | instskip(SKIP_1) | instid1(VALU_DEP_3)
	v_fma_f64 v[111:112], v[107:108], s[26:27], v[109:110]
	v_mul_f64_e32 v[107:108], -0.5, v[107:108]
	v_fma_f64 v[105:106], v[99:100], 0.5, v[101:102]
	v_add_f64_e32 v[99:100], v[120:121], v[103:104]
	s_delay_alu instid0(VALU_DEP_3)
	v_fma_f64 v[89:90], v[89:90], s[28:29], v[107:108]
	v_add_f64_e32 v[107:108], v[116:117], v[111:112]
	v_add_f64_e64 v[103:104], v[120:121], -v[103:104]
	v_add_f64_e64 v[116:117], v[116:117], -v[111:112]
	v_add_f64_e32 v[101:102], v[122:123], v[105:106]
	v_add_f64_e64 v[105:106], v[122:123], -v[105:106]
	v_add_f64_e32 v[109:110], v[118:119], v[89:90]
	v_add_f64_e64 v[118:119], v[118:119], -v[89:90]
	ds_store_b128 v0, v[33:36]
	ds_store_b128 v0, v[99:102] offset:160
	ds_store_b128 v0, v[107:110] offset:320
	;; [unrolled: 1-line block ×5, first 2 shown]
	v_mul_lo_u16 v0, 0x89, v255
	global_wb scope:SCOPE_SE
	s_wait_storecnt_dscnt 0x0
	s_barrier_signal -1
	s_barrier_wait -1
	global_inv scope:SCOPE_SE
	v_lshrrev_b16 v122, 13, v0
	ds_load_b128 v[1:4], v253 offset:30720
	v_mul_lo_u16 v116, 0x89, v115
	v_or_b32_e32 v117, 0x380, v255
	v_or_b32_e32 v123, 0x400, v255
	v_mul_lo_u16 v0, v122, 60
	s_delay_alu instid0(VALU_DEP_4) | instskip(NEXT) | instid1(VALU_DEP_4)
	v_lshrrev_b16 v144, 13, v116
	v_mul_u32_u24_e32 v124, 0x445, v117
	s_delay_alu instid0(VALU_DEP_4) | instskip(NEXT) | instid1(VALU_DEP_4)
	v_mul_u32_u24_e32 v126, 0x889, v123
	v_sub_nc_u16 v0, v255, v0
	s_delay_alu instid0(VALU_DEP_3) | instskip(NEXT) | instid1(VALU_DEP_3)
	v_lshrrev_b32_e32 v149, 16, v124
	v_lshrrev_b32_e32 v150, 17, v126
	s_delay_alu instid0(VALU_DEP_3) | instskip(NEXT) | instid1(VALU_DEP_1)
	v_and_b32_e32 v143, 0xff, v0
	v_lshlrev_b32_e32 v0, 4, v143
	global_load_b128 v[7:10], v0, s[10:11] offset:800
	s_wait_loadcnt_dscnt 0x0
	v_mul_f64_e32 v[5:6], v[3:4], v[9:10]
	scratch_store_b128 off, v[7:10], off offset:912 ; 16-byte Folded Spill
	v_fma_f64 v[5:6], v[1:2], v[7:8], -v[5:6]
	v_mul_f64_e32 v[0:1], v[1:2], v[9:10]
	s_delay_alu instid0(VALU_DEP_1) | instskip(SKIP_3) | instid1(VALU_DEP_1)
	v_fma_f64 v[7:8], v[3:4], v[7:8], v[0:1]
	v_mul_lo_u16 v0, v144, 60
	ds_load_b128 v[1:4], v253 offset:32768
	v_sub_nc_u16 v0, v115, v0
	v_and_b32_e32 v145, 0xff, v0
	s_delay_alu instid0(VALU_DEP_1)
	v_lshlrev_b32_e32 v0, 4, v145
	global_load_b128 v[11:14], v0, s[10:11] offset:800
	s_wait_loadcnt_dscnt 0x0
	v_mul_f64_e32 v[9:10], v[3:4], v[13:14]
	scratch_store_b128 off, v[11:14], off offset:928 ; 16-byte Folded Spill
	v_fma_f64 v[9:10], v[1:2], v[11:12], -v[9:10]
	v_mul_f64_e32 v[0:1], v[1:2], v[13:14]
	s_delay_alu instid0(VALU_DEP_1) | instskip(SKIP_3) | instid1(VALU_DEP_1)
	v_fma_f64 v[11:12], v[3:4], v[11:12], v[0:1]
	v_mul_u32_u24_e32 v0, 0x445, v114
	ds_load_b128 v[1:4], v253 offset:34816
	v_lshrrev_b32_e32 v158, 16, v0
	v_mul_lo_u16 v0, v158, 60
	s_delay_alu instid0(VALU_DEP_1) | instskip(NEXT) | instid1(VALU_DEP_1)
	v_sub_nc_u16 v173, v114, v0
	v_and_b32_e32 v0, 0xffff, v173
	s_delay_alu instid0(VALU_DEP_1)
	v_lshlrev_b32_e32 v0, 4, v0
	global_load_b128 v[15:18], v0, s[10:11] offset:800
	s_wait_loadcnt_dscnt 0x0
	v_mul_f64_e32 v[13:14], v[3:4], v[17:18]
	scratch_store_b128 off, v[15:18], off offset:944 ; 16-byte Folded Spill
	v_fma_f64 v[13:14], v[1:2], v[15:16], -v[13:14]
	v_mul_f64_e32 v[0:1], v[1:2], v[17:18]
	s_delay_alu instid0(VALU_DEP_1) | instskip(SKIP_3) | instid1(VALU_DEP_1)
	v_fma_f64 v[15:16], v[3:4], v[15:16], v[0:1]
	v_mul_u32_u24_e32 v0, 0x445, v113
	ds_load_b128 v[1:4], v253 offset:36864
	v_lshrrev_b32_e32 v157, 16, v0
	v_mul_lo_u16 v0, v157, 60
	s_delay_alu instid0(VALU_DEP_1) | instskip(NEXT) | instid1(VALU_DEP_1)
	v_sub_nc_u16 v172, v113, v0
	v_and_b32_e32 v0, 0xffff, v172
	s_delay_alu instid0(VALU_DEP_1)
	v_lshlrev_b32_e32 v0, 4, v0
	global_load_b128 v[19:22], v0, s[10:11] offset:800
	s_wait_loadcnt 0x0
	scratch_store_b128 off, v[19:22], off offset:960 ; 16-byte Folded Spill
	s_wait_dscnt 0x0
	v_mul_f64_e32 v[17:18], v[3:4], v[21:22]
	s_delay_alu instid0(VALU_DEP_1) | instskip(SKIP_1) | instid1(VALU_DEP_1)
	v_fma_f64 v[17:18], v[1:2], v[19:20], -v[17:18]
	v_mul_f64_e32 v[0:1], v[1:2], v[21:22]
	v_fma_f64 v[19:20], v[3:4], v[19:20], v[0:1]
	v_mul_lo_u16 v0, v146, 60
	ds_load_b128 v[1:4], v253 offset:38912
	v_sub_nc_u16 v159, v161, v0
	s_delay_alu instid0(VALU_DEP_1) | instskip(NEXT) | instid1(VALU_DEP_1)
	v_and_b32_e32 v0, 0xffff, v159
	v_lshlrev_b32_e32 v0, 4, v0
	global_load_b128 v[23:26], v0, s[10:11] offset:800
	s_wait_loadcnt_dscnt 0x0
	v_mul_f64_e32 v[21:22], v[3:4], v[25:26]
	scratch_store_b128 off, v[23:26], off offset:976 ; 16-byte Folded Spill
	v_fma_f64 v[21:22], v[1:2], v[23:24], -v[21:22]
	v_mul_f64_e32 v[0:1], v[1:2], v[25:26]
	s_delay_alu instid0(VALU_DEP_1) | instskip(SKIP_3) | instid1(VALU_DEP_1)
	v_fma_f64 v[23:24], v[3:4], v[23:24], v[0:1]
	v_mul_lo_u16 v0, v147, 60
	ds_load_b128 v[1:4], v253 offset:40960
	v_sub_nc_u16 v162, v138, v0
	v_and_b32_e32 v0, 0xffff, v162
	s_delay_alu instid0(VALU_DEP_1)
	v_lshlrev_b32_e32 v0, 4, v0
	global_load_b128 v[27:30], v0, s[10:11] offset:800
	s_wait_loadcnt 0x0
	scratch_store_b128 off, v[27:30], off offset:992 ; 16-byte Folded Spill
	s_wait_dscnt 0x0
	v_mul_f64_e32 v[25:26], v[3:4], v[29:30]
	s_delay_alu instid0(VALU_DEP_1) | instskip(SKIP_1) | instid1(VALU_DEP_1)
	v_fma_f64 v[25:26], v[1:2], v[27:28], -v[25:26]
	v_mul_f64_e32 v[0:1], v[1:2], v[29:30]
	v_fma_f64 v[27:28], v[3:4], v[27:28], v[0:1]
	v_mul_lo_u16 v0, v148, 60
	ds_load_b128 v[1:4], v253 offset:43008
	v_sub_nc_u16 v163, v140, v0
	s_delay_alu instid0(VALU_DEP_1) | instskip(NEXT) | instid1(VALU_DEP_1)
	v_and_b32_e32 v0, 0xffff, v163
	v_lshlrev_b32_e32 v0, 4, v0
	global_load_b128 v[31:34], v0, s[10:11] offset:800
	s_wait_loadcnt_dscnt 0x0
	v_mul_f64_e32 v[29:30], v[3:4], v[33:34]
	scratch_store_b128 off, v[31:34], off offset:1008 ; 16-byte Folded Spill
	v_fma_f64 v[29:30], v[1:2], v[31:32], -v[29:30]
	v_mul_f64_e32 v[0:1], v[1:2], v[33:34]
	s_delay_alu instid0(VALU_DEP_1) | instskip(SKIP_3) | instid1(VALU_DEP_1)
	v_fma_f64 v[31:32], v[3:4], v[31:32], v[0:1]
	v_mul_lo_u16 v0, v149, 60
	ds_load_b128 v[1:4], v253 offset:45056
	;; [unrolled: 29-line block ×5, first 2 shown]
	v_sub_nc_u16 v170, v133, v0
	v_and_b32_e32 v0, 0xffff, v170
	s_delay_alu instid0(VALU_DEP_1)
	v_lshlrev_b32_e32 v0, 4, v0
	global_load_b128 v[43:46], v0, s[10:11] offset:800
	s_wait_loadcnt 0x0
	scratch_store_b128 off, v[43:46], off offset:1124 ; 16-byte Folded Spill
	s_wait_dscnt 0x0
	v_mul_f64_e32 v[41:42], v[3:4], v[45:46]
	s_delay_alu instid0(VALU_DEP_1) | instskip(SKIP_1) | instid1(VALU_DEP_1)
	v_fma_f64 v[190:191], v[1:2], v[43:44], -v[41:42]
	v_mul_f64_e32 v[0:1], v[1:2], v[45:46]
	v_fma_f64 v[192:193], v[3:4], v[43:44], v[0:1]
	v_mul_lo_u16 v0, v156, 60
	ds_load_b128 v[1:4], v253 offset:59392
	v_sub_nc_u16 v171, v135, v0
	s_delay_alu instid0(VALU_DEP_1) | instskip(NEXT) | instid1(VALU_DEP_1)
	v_and_b32_e32 v0, 0xffff, v171
	v_lshlrev_b32_e32 v0, 4, v0
	global_load_b128 v[43:46], v0, s[10:11] offset:800
	s_wait_loadcnt_dscnt 0x0
	v_mul_f64_e32 v[41:42], v[3:4], v[45:46]
	s_delay_alu instid0(VALU_DEP_1) | instskip(SKIP_1) | instid1(VALU_DEP_1)
	v_fma_f64 v[120:121], v[1:2], v[43:44], -v[41:42]
	v_mul_f64_e32 v[0:1], v[1:2], v[45:46]
	v_fma_f64 v[118:119], v[3:4], v[43:44], v[0:1]
	ds_load_b128 v[1:4], v253
	v_and_b32_e32 v0, 0xffff, v122
	s_delay_alu instid0(VALU_DEP_1) | instskip(NEXT) | instid1(VALU_DEP_1)
	v_mul_u32_u24_e32 v0, 0x78, v0
	v_add_lshl_u32 v0, v0, v143, 4
	scratch_store_b128 off, v[43:46], off offset:1140 ; 16-byte Folded Spill
	v_mul_u32_u24_e32 v143, 0x223, v113
	scratch_store_b32 off, v0, off offset:1212 ; 4-byte Folded Spill
	s_wait_dscnt 0x0
	v_add_f64_e64 v[105:106], v[1:2], -v[5:6]
	v_add_f64_e64 v[107:108], v[3:4], -v[7:8]
	ds_load_b128 v[5:8], v253 offset:26624
	v_fma_f64 v[109:110], v[1:2], 2.0, -v[105:106]
	v_fma_f64 v[111:112], v[3:4], 2.0, -v[107:108]
	ds_load_b128 v[1:4], v253 offset:2048
	s_wait_dscnt 0x0
	v_add_f64_e64 v[97:98], v[1:2], -v[9:10]
	v_add_f64_e64 v[99:100], v[3:4], -v[11:12]
	s_delay_alu instid0(VALU_DEP_2) | instskip(NEXT) | instid1(VALU_DEP_2)
	v_fma_f64 v[101:102], v[1:2], 2.0, -v[97:98]
	v_fma_f64 v[103:104], v[3:4], 2.0, -v[99:100]
	ds_load_b128 v[1:4], v253 offset:4096
	s_wait_dscnt 0x0
	v_add_f64_e64 v[89:90], v[1:2], -v[13:14]
	v_add_f64_e64 v[91:92], v[3:4], -v[15:16]
	s_delay_alu instid0(VALU_DEP_2) | instskip(NEXT) | instid1(VALU_DEP_2)
	;; [unrolled: 7-line block ×8, first 2 shown]
	v_fma_f64 v[45:46], v[1:2], 2.0, -v[41:42]
	v_fma_f64 v[47:48], v[3:4], 2.0, -v[43:44]
	ds_load_b128 v[1:4], v253 offset:18432
	s_wait_dscnt 0x0
	v_add_f64_e64 v[33:34], v[1:2], -v[174:175]
	v_add_f64_e64 v[35:36], v[3:4], -v[176:177]
	ds_load_b128 v[174:177], v253 offset:28672
	v_fma_f64 v[37:38], v[1:2], 2.0, -v[33:34]
	v_fma_f64 v[39:40], v[3:4], 2.0, -v[35:36]
	ds_load_b128 v[1:4], v253 offset:20480
	s_wait_dscnt 0x0
	v_add_f64_e64 v[25:26], v[1:2], -v[178:179]
	v_add_f64_e64 v[27:28], v[3:4], -v[180:181]
	;; [unrolled: 1-line block ×4, first 2 shown]
	s_delay_alu instid0(VALU_DEP_4) | instskip(NEXT) | instid1(VALU_DEP_4)
	v_fma_f64 v[29:30], v[1:2], 2.0, -v[25:26]
	v_fma_f64 v[31:32], v[3:4], 2.0, -v[27:28]
	ds_load_b128 v[1:4], v253 offset:22528
	v_fma_f64 v[118:119], v[174:175], 2.0, -v[178:179]
	v_fma_f64 v[120:121], v[176:177], 2.0, -v[180:181]
	s_wait_dscnt 0x0
	v_add_f64_e64 v[17:18], v[1:2], -v[182:183]
	v_add_f64_e64 v[19:20], v[3:4], -v[184:185]
	s_delay_alu instid0(VALU_DEP_2) | instskip(NEXT) | instid1(VALU_DEP_2)
	v_fma_f64 v[21:22], v[1:2], 2.0, -v[17:18]
	v_fma_f64 v[23:24], v[3:4], 2.0, -v[19:20]
	ds_load_b128 v[1:4], v253 offset:24576
	global_wb scope:SCOPE_SE
	s_wait_storecnt_dscnt 0x0
	s_barrier_signal -1
	s_barrier_wait -1
	global_inv scope:SCOPE_SE
	ds_store_b128 v0, v[105:108] offset:960
	ds_store_b128 v0, v[109:112]
	v_and_b32_e32 v0, 0xffff, v144
	s_delay_alu instid0(VALU_DEP_1) | instskip(NEXT) | instid1(VALU_DEP_1)
	v_mul_u32_u24_e32 v0, 0x78, v0
	v_add_lshl_u32 v0, v0, v145, 4
	v_lshrrev_b32_e32 v145, 18, v134
	v_add_f64_e64 v[9:10], v[1:2], -v[186:187]
	scratch_store_b32 off, v0, off offset:1208 ; 4-byte Folded Spill
	ds_store_b128 v0, v[101:104]
	ds_store_b128 v0, v[97:100] offset:960
	v_mad_u16 v0, 0x78, v158, v173
	v_add_f64_e64 v[11:12], v[3:4], -v[188:189]
	s_delay_alu instid0(VALU_DEP_2) | instskip(NEXT) | instid1(VALU_DEP_1)
	v_and_b32_e32 v0, 0xffff, v0
	v_lshlrev_b32_e32 v0, 4, v0
	scratch_store_b32 off, v0, off offset:1204 ; 4-byte Folded Spill
	ds_store_b128 v0, v[93:96]
	ds_store_b128 v0, v[89:92] offset:960
	v_mad_u16 v0, 0x78, v157, v172
	s_delay_alu instid0(VALU_DEP_1) | instskip(NEXT) | instid1(VALU_DEP_1)
	v_and_b32_e32 v0, 0xffff, v0
	v_lshlrev_b32_e32 v0, 4, v0
	scratch_store_b32 off, v0, off offset:1200 ; 4-byte Folded Spill
	ds_store_b128 v0, v[85:88]
	ds_store_b128 v0, v[81:84] offset:960
	v_mad_u16 v0, 0x78, v146, v159
	v_fma_f64 v[13:14], v[1:2], 2.0, -v[9:10]
	v_add_f64_e64 v[1:2], v[5:6], -v[190:191]
	v_lshrrev_b32_e32 v159, 17, v142
	s_delay_alu instid0(VALU_DEP_4) | instskip(SKIP_2) | instid1(VALU_DEP_3)
	v_and_b32_e32 v0, 0xffff, v0
	v_fma_f64 v[15:16], v[3:4], 2.0, -v[11:12]
	v_add_f64_e64 v[3:4], v[7:8], -v[192:193]
	v_lshlrev_b32_e32 v0, 4, v0
	scratch_store_b32 off, v0, off offset:1196 ; 4-byte Folded Spill
	ds_store_b128 v0, v[77:80]
	ds_store_b128 v0, v[73:76] offset:960
	v_mad_u16 v0, 0x78, v147, v162
	v_lshrrev_b32_e32 v147, 18, v132
	s_delay_alu instid0(VALU_DEP_2) | instskip(NEXT) | instid1(VALU_DEP_1)
	v_and_b32_e32 v0, 0xffff, v0
	v_lshlrev_b32_e32 v0, 4, v0
	scratch_store_b32 off, v0, off offset:1192 ; 4-byte Folded Spill
	ds_store_b128 v0, v[69:72]
	ds_store_b128 v0, v[65:68] offset:960
	v_mad_u16 v0, 0x78, v148, v163
	v_lshrrev_b32_e32 v163, 17, v141
	s_delay_alu instid0(VALU_DEP_2) | instskip(SKIP_1) | instid1(VALU_DEP_2)
	v_and_b32_e32 v0, 0xffff, v0
	v_fma_f64 v[5:6], v[5:6], 2.0, -v[1:2]
	v_lshlrev_b32_e32 v0, 4, v0
	v_fma_f64 v[7:8], v[7:8], 2.0, -v[3:4]
	scratch_store_b32 off, v0, off offset:1188 ; 4-byte Folded Spill
	ds_store_b128 v0, v[61:64]
	ds_store_b128 v0, v[57:60] offset:960
	v_mad_u16 v0, 0x78, v149, v164
	v_lshrrev_b32_e32 v149, 18, v130
	s_delay_alu instid0(VALU_DEP_2) | instskip(NEXT) | instid1(VALU_DEP_1)
	v_and_b32_e32 v0, 0xffff, v0
	v_lshlrev_b32_e32 v0, 4, v0
	scratch_store_b32 off, v0, off offset:1184 ; 4-byte Folded Spill
	ds_store_b128 v0, v[53:56]
	ds_store_b128 v0, v[49:52] offset:960
	v_mad_u16 v0, 0x78, v150, v165
	v_lshrrev_b32_e32 v165, 17, v139
	s_delay_alu instid0(VALU_DEP_2) | instskip(NEXT) | instid1(VALU_DEP_1)
	v_and_b32_e32 v0, 0xffff, v0
	v_lshlrev_b32_e32 v0, 4, v0
	;; [unrolled: 8-line block ×5, first 2 shown]
	scratch_store_b32 off, v0, off offset:1168 ; 4-byte Folded Spill
	ds_store_b128 v0, v[21:24]
	ds_store_b128 v0, v[17:20] offset:960
	v_mad_u16 v0, 0x78, v154, v169
	s_delay_alu instid0(VALU_DEP_1) | instskip(NEXT) | instid1(VALU_DEP_1)
	v_and_b32_e32 v0, 0xffff, v0
	v_lshlrev_b32_e32 v0, 4, v0
	scratch_store_b32 off, v0, off offset:1164 ; 4-byte Folded Spill
	ds_store_b128 v0, v[13:16]
	ds_store_b128 v0, v[9:12] offset:960
	v_mad_u16 v0, 0x78, v155, v170
	v_lshrrev_b16 v155, 14, v116
	v_lshrrev_b32_e32 v116, 18, v136
	s_delay_alu instid0(VALU_DEP_3) | instskip(NEXT) | instid1(VALU_DEP_1)
	v_and_b32_e32 v0, 0xffff, v0
	v_lshlrev_b32_e32 v0, 4, v0
	scratch_store_b32 off, v0, off offset:1160 ; 4-byte Folded Spill
	ds_store_b128 v0, v[5:8]
	ds_store_b128 v0, v[1:4] offset:960
	v_mad_u16 v0, 0x78, v156, v171
	v_lshrrev_b32_e32 v156, 17, v124
	s_delay_alu instid0(VALU_DEP_2) | instskip(NEXT) | instid1(VALU_DEP_1)
	v_and_b32_e32 v0, 0xffff, v0
	v_lshlrev_b32_e32 v0, 4, v0
	scratch_store_b32 off, v0, off offset:1156 ; 4-byte Folded Spill
	ds_store_b128 v0, v[118:121]
	ds_store_b128 v0, v[178:181] offset:960
	v_add_co_u32 v0, s30, 0xffffff88, v255
	s_delay_alu instid0(VALU_DEP_1)
	v_add_co_ci_u32_e64 v1, null, 0, -1, s30
	global_wb scope:SCOPE_SE
	s_wait_storecnt_dscnt 0x0
	v_cndmask_b32_e32 v118, v0, v255, vcc_lo
	s_barrier_signal -1
	v_cndmask_b32_e64 v119, v1, 0, vcc_lo
	s_barrier_wait -1
	global_inv scope:SCOPE_SE
	v_lshlrev_b64_e32 v[0:1], 4, v[118:119]
	s_delay_alu instid0(VALU_DEP_1) | instskip(SKIP_1) | instid1(VALU_DEP_2)
	v_add_co_u32 v0, vcc_lo, s10, v0
	s_wait_alu 0xfffd
	v_add_co_ci_u32_e32 v1, vcc_lo, s11, v1, vcc_lo
	v_cmp_lt_u32_e32 vcc_lo, 0x77, v255
	global_load_b128 v[7:10], v[0:1], off offset:1760
	ds_load_b128 v[1:4], v253 offset:30720
	s_wait_loadcnt_dscnt 0x0
	v_mul_f64_e32 v[5:6], v[3:4], v[9:10]
	scratch_store_b128 off, v[7:10], off offset:1216 ; 16-byte Folded Spill
	v_fma_f64 v[5:6], v[1:2], v[7:8], -v[5:6]
	v_mul_f64_e32 v[0:1], v[1:2], v[9:10]
	s_delay_alu instid0(VALU_DEP_1) | instskip(SKIP_3) | instid1(VALU_DEP_1)
	v_fma_f64 v[7:8], v[3:4], v[7:8], v[0:1]
	v_mul_lo_u16 v0, 0x78, v155
	ds_load_b128 v[1:4], v253 offset:32768
	v_sub_nc_u16 v0, v115, v0
	v_and_b32_e32 v158, 0xff, v0
	s_delay_alu instid0(VALU_DEP_1)
	v_lshlrev_b32_e32 v0, 4, v158
	global_load_b128 v[11:14], v0, s[10:11] offset:1760
	s_wait_loadcnt_dscnt 0x0
	v_mul_f64_e32 v[9:10], v[3:4], v[13:14]
	scratch_store_b128 off, v[11:14], off offset:1232 ; 16-byte Folded Spill
	v_fma_f64 v[9:10], v[1:2], v[11:12], -v[9:10]
	v_mul_f64_e32 v[0:1], v[1:2], v[13:14]
	s_delay_alu instid0(VALU_DEP_1) | instskip(SKIP_3) | instid1(VALU_DEP_1)
	v_fma_f64 v[11:12], v[3:4], v[11:12], v[0:1]
	v_mul_u32_u24_e32 v0, 0x223, v114
	ds_load_b128 v[1:4], v253 offset:34816
	v_lshrrev_b32_e32 v169, 16, v0
	v_mul_lo_u16 v0, 0x78, v169
	s_delay_alu instid0(VALU_DEP_1) | instskip(SKIP_1) | instid1(VALU_DEP_2)
	v_sub_nc_u16 v171, v114, v0
	v_lshrrev_b32_e32 v114, 18, v137
	v_and_b32_e32 v0, 0xffff, v171
	s_delay_alu instid0(VALU_DEP_1)
	v_lshlrev_b32_e32 v0, 4, v0
	global_load_b128 v[15:18], v0, s[10:11] offset:1760
	s_wait_loadcnt_dscnt 0x0
	v_mul_f64_e32 v[13:14], v[3:4], v[17:18]
	scratch_store_b128 off, v[15:18], off offset:1248 ; 16-byte Folded Spill
	v_fma_f64 v[13:14], v[1:2], v[15:16], -v[13:14]
	v_mul_f64_e32 v[0:1], v[1:2], v[17:18]
	s_delay_alu instid0(VALU_DEP_1) | instskip(SKIP_3) | instid1(VALU_DEP_1)
	v_fma_f64 v[15:16], v[3:4], v[15:16], v[0:1]
	v_mul_lo_u16 v0, 0x78, v167
	ds_load_b128 v[1:4], v253 offset:36864
	v_sub_nc_u16 v170, v113, v0
	v_and_b32_e32 v0, 0xffff, v170
	s_delay_alu instid0(VALU_DEP_1)
	v_lshlrev_b32_e32 v0, 4, v0
	global_load_b128 v[19:22], v0, s[10:11] offset:1760
	s_wait_loadcnt_dscnt 0x0
	v_mul_f64_e32 v[17:18], v[3:4], v[21:22]
	scratch_store_b128 off, v[19:22], off offset:1264 ; 16-byte Folded Spill
	v_fma_f64 v[17:18], v[1:2], v[19:20], -v[17:18]
	v_mul_f64_e32 v[0:1], v[1:2], v[21:22]
	s_delay_alu instid0(VALU_DEP_1) | instskip(SKIP_3) | instid1(VALU_DEP_1)
	v_fma_f64 v[19:20], v[3:4], v[19:20], v[0:1]
	v_mul_lo_u16 v0, 0x78, v165
	ds_load_b128 v[1:4], v253 offset:38912
	v_sub_nc_u16 v168, v161, v0
	;; [unrolled: 14-line block ×7, first 2 shown]
	v_and_b32_e32 v0, 0xffff, v154
	s_delay_alu instid0(VALU_DEP_1)
	v_lshlrev_b32_e32 v0, 4, v0
	global_load_b128 v[43:46], v0, s[10:11] offset:1760
	s_wait_loadcnt 0x0
	scratch_store_b128 off, v[43:46], off offset:1360 ; 16-byte Folded Spill
	s_wait_dscnt 0x0
	v_mul_f64_e32 v[41:42], v[3:4], v[45:46]
	s_delay_alu instid0(VALU_DEP_1) | instskip(SKIP_1) | instid1(VALU_DEP_1)
	v_fma_f64 v[172:173], v[1:2], v[43:44], -v[41:42]
	v_mul_f64_e32 v[0:1], v[1:2], v[45:46]
	v_fma_f64 v[174:175], v[3:4], v[43:44], v[0:1]
	v_mul_lo_u16 v0, 0x78, v149
	ds_load_b128 v[1:4], v253 offset:51200
	v_sub_nc_u16 v152, v127, v0
	s_delay_alu instid0(VALU_DEP_1) | instskip(NEXT) | instid1(VALU_DEP_1)
	v_and_b32_e32 v0, 0xffff, v152
	v_lshlrev_b32_e32 v0, 4, v0
	global_load_b128 v[43:46], v0, s[10:11] offset:1760
	s_wait_loadcnt_dscnt 0x0
	v_mul_f64_e32 v[41:42], v[3:4], v[45:46]
	scratch_store_b128 off, v[43:46], off offset:1376 ; 16-byte Folded Spill
	v_fma_f64 v[176:177], v[1:2], v[43:44], -v[41:42]
	v_mul_f64_e32 v[0:1], v[1:2], v[45:46]
	s_delay_alu instid0(VALU_DEP_1) | instskip(SKIP_3) | instid1(VALU_DEP_1)
	v_fma_f64 v[178:179], v[3:4], v[43:44], v[0:1]
	v_mul_lo_u16 v0, 0x78, v147
	ds_load_b128 v[1:4], v253 offset:53248
	v_sub_nc_u16 v150, v129, v0
	v_and_b32_e32 v0, 0xffff, v150
	s_delay_alu instid0(VALU_DEP_1)
	v_lshlrev_b32_e32 v0, 4, v0
	global_load_b128 v[43:46], v0, s[10:11] offset:1760
	s_wait_loadcnt 0x0
	scratch_store_b128 off, v[43:46], off offset:1392 ; 16-byte Folded Spill
	s_wait_dscnt 0x0
	v_mul_f64_e32 v[41:42], v[3:4], v[45:46]
	s_delay_alu instid0(VALU_DEP_1) | instskip(SKIP_1) | instid1(VALU_DEP_1)
	v_fma_f64 v[180:181], v[1:2], v[43:44], -v[41:42]
	v_mul_f64_e32 v[0:1], v[1:2], v[45:46]
	v_fma_f64 v[182:183], v[3:4], v[43:44], v[0:1]
	v_mul_lo_u16 v0, 0x78, v145
	ds_load_b128 v[1:4], v253 offset:55296
	v_sub_nc_u16 v148, v131, v0
	s_delay_alu instid0(VALU_DEP_1) | instskip(NEXT) | instid1(VALU_DEP_1)
	v_and_b32_e32 v0, 0xffff, v148
	v_lshlrev_b32_e32 v0, 4, v0
	global_load_b128 v[43:46], v0, s[10:11] offset:1760
	s_wait_loadcnt_dscnt 0x0
	v_mul_f64_e32 v[41:42], v[3:4], v[45:46]
	scratch_store_b128 off, v[43:46], off offset:1408 ; 16-byte Folded Spill
	v_fma_f64 v[184:185], v[1:2], v[43:44], -v[41:42]
	v_mul_f64_e32 v[0:1], v[1:2], v[45:46]
	s_delay_alu instid0(VALU_DEP_1) | instskip(SKIP_3) | instid1(VALU_DEP_1)
	v_fma_f64 v[186:187], v[3:4], v[43:44], v[0:1]
	v_mul_lo_u16 v0, 0x78, v116
	ds_load_b128 v[1:4], v253 offset:57344
	v_sub_nc_u16 v146, v133, v0
	v_and_b32_e32 v0, 0xffff, v146
	s_delay_alu instid0(VALU_DEP_1)
	v_lshlrev_b32_e32 v0, 4, v0
	global_load_b128 v[43:46], v0, s[10:11] offset:1760
	s_wait_loadcnt 0x0
	scratch_store_b128 off, v[43:46], off offset:1424 ; 16-byte Folded Spill
	s_wait_dscnt 0x0
	v_mul_f64_e32 v[41:42], v[3:4], v[45:46]
	s_delay_alu instid0(VALU_DEP_1) | instskip(SKIP_1) | instid1(VALU_DEP_1)
	v_fma_f64 v[188:189], v[1:2], v[43:44], -v[41:42]
	v_mul_f64_e32 v[0:1], v[1:2], v[45:46]
	v_fma_f64 v[190:191], v[3:4], v[43:44], v[0:1]
	v_mul_lo_u16 v0, 0x78, v114
	ds_load_b128 v[1:4], v253 offset:59392
	v_sub_nc_u16 v144, v135, v0
	s_delay_alu instid0(VALU_DEP_1) | instskip(NEXT) | instid1(VALU_DEP_1)
	v_and_b32_e32 v0, 0xffff, v144
	v_lshlrev_b32_e32 v0, 4, v0
	global_load_b128 v[43:46], v0, s[10:11] offset:1760
	s_wait_loadcnt_dscnt 0x0
	v_mul_f64_e32 v[41:42], v[3:4], v[45:46]
	s_delay_alu instid0(VALU_DEP_1) | instskip(SKIP_1) | instid1(VALU_DEP_1)
	v_fma_f64 v[121:122], v[1:2], v[43:44], -v[41:42]
	v_mul_f64_e32 v[0:1], v[1:2], v[45:46]
	v_fma_f64 v[119:120], v[3:4], v[43:44], v[0:1]
	ds_load_b128 v[1:4], v253
	s_wait_alu 0xfffd
	v_cndmask_b32_e64 v0, 0, 0xf0, vcc_lo
	s_delay_alu instid0(VALU_DEP_1)
	v_add_lshl_u32 v0, v118, v0, 4
	s_clause 0x1
	scratch_store_b128 off, v[43:46], off offset:1440
	scratch_store_b32 off, v0, off offset:1512
	s_wait_dscnt 0x0
	v_add_f64_e64 v[105:106], v[1:2], -v[5:6]
	v_add_f64_e64 v[107:108], v[3:4], -v[7:8]
	ds_load_b128 v[5:8], v253 offset:26624
	v_fma_f64 v[109:110], v[1:2], 2.0, -v[105:106]
	v_fma_f64 v[111:112], v[3:4], 2.0, -v[107:108]
	ds_load_b128 v[1:4], v253 offset:2048
	s_wait_dscnt 0x0
	v_add_f64_e64 v[97:98], v[1:2], -v[9:10]
	v_add_f64_e64 v[99:100], v[3:4], -v[11:12]
	s_delay_alu instid0(VALU_DEP_2) | instskip(NEXT) | instid1(VALU_DEP_2)
	v_fma_f64 v[101:102], v[1:2], 2.0, -v[97:98]
	v_fma_f64 v[103:104], v[3:4], 2.0, -v[99:100]
	ds_load_b128 v[1:4], v253 offset:4096
	s_wait_dscnt 0x0
	v_add_f64_e64 v[89:90], v[1:2], -v[13:14]
	v_add_f64_e64 v[91:92], v[3:4], -v[15:16]
	s_delay_alu instid0(VALU_DEP_2) | instskip(NEXT) | instid1(VALU_DEP_2)
	v_fma_f64 v[93:94], v[1:2], 2.0, -v[89:90]
	v_fma_f64 v[95:96], v[3:4], 2.0, -v[91:92]
	ds_load_b128 v[1:4], v253 offset:6144
	s_wait_dscnt 0x0
	v_add_f64_e64 v[81:82], v[1:2], -v[17:18]
	v_add_f64_e64 v[83:84], v[3:4], -v[19:20]
	s_delay_alu instid0(VALU_DEP_2) | instskip(NEXT) | instid1(VALU_DEP_2)
	v_fma_f64 v[85:86], v[1:2], 2.0, -v[81:82]
	v_fma_f64 v[87:88], v[3:4], 2.0, -v[83:84]
	ds_load_b128 v[1:4], v253 offset:8192
	s_wait_dscnt 0x0
	v_add_f64_e64 v[73:74], v[1:2], -v[21:22]
	v_add_f64_e64 v[75:76], v[3:4], -v[23:24]
	s_delay_alu instid0(VALU_DEP_2) | instskip(NEXT) | instid1(VALU_DEP_2)
	v_fma_f64 v[77:78], v[1:2], 2.0, -v[73:74]
	v_fma_f64 v[79:80], v[3:4], 2.0, -v[75:76]
	ds_load_b128 v[1:4], v253 offset:10240
	s_wait_dscnt 0x0
	v_add_f64_e64 v[65:66], v[1:2], -v[25:26]
	v_add_f64_e64 v[67:68], v[3:4], -v[27:28]
	s_delay_alu instid0(VALU_DEP_2) | instskip(NEXT) | instid1(VALU_DEP_2)
	v_fma_f64 v[69:70], v[1:2], 2.0, -v[65:66]
	v_fma_f64 v[71:72], v[3:4], 2.0, -v[67:68]
	ds_load_b128 v[1:4], v253 offset:12288
	s_wait_dscnt 0x0
	v_add_f64_e64 v[57:58], v[1:2], -v[29:30]
	v_add_f64_e64 v[59:60], v[3:4], -v[31:32]
	s_delay_alu instid0(VALU_DEP_2) | instskip(NEXT) | instid1(VALU_DEP_2)
	v_fma_f64 v[61:62], v[1:2], 2.0, -v[57:58]
	v_fma_f64 v[63:64], v[3:4], 2.0, -v[59:60]
	ds_load_b128 v[1:4], v253 offset:14336
	s_wait_dscnt 0x0
	v_add_f64_e64 v[49:50], v[1:2], -v[33:34]
	v_add_f64_e64 v[51:52], v[3:4], -v[35:36]
	s_delay_alu instid0(VALU_DEP_2) | instskip(NEXT) | instid1(VALU_DEP_2)
	v_fma_f64 v[53:54], v[1:2], 2.0, -v[49:50]
	v_fma_f64 v[55:56], v[3:4], 2.0, -v[51:52]
	ds_load_b128 v[1:4], v253 offset:16384
	s_wait_dscnt 0x0
	v_add_f64_e64 v[41:42], v[1:2], -v[37:38]
	v_add_f64_e64 v[43:44], v[3:4], -v[39:40]
	s_delay_alu instid0(VALU_DEP_2) | instskip(NEXT) | instid1(VALU_DEP_2)
	v_fma_f64 v[45:46], v[1:2], 2.0, -v[41:42]
	v_fma_f64 v[47:48], v[3:4], 2.0, -v[43:44]
	ds_load_b128 v[1:4], v253 offset:18432
	s_wait_dscnt 0x0
	v_add_f64_e64 v[33:34], v[1:2], -v[172:173]
	v_add_f64_e64 v[35:36], v[3:4], -v[174:175]
	ds_load_b128 v[172:175], v253 offset:28672
	v_fma_f64 v[37:38], v[1:2], 2.0, -v[33:34]
	v_fma_f64 v[39:40], v[3:4], 2.0, -v[35:36]
	ds_load_b128 v[1:4], v253 offset:20480
	s_wait_dscnt 0x0
	v_add_f64_e64 v[25:26], v[1:2], -v[176:177]
	v_add_f64_e64 v[27:28], v[3:4], -v[178:179]
	;; [unrolled: 1-line block ×4, first 2 shown]
	s_delay_alu instid0(VALU_DEP_4) | instskip(NEXT) | instid1(VALU_DEP_4)
	v_fma_f64 v[29:30], v[1:2], 2.0, -v[25:26]
	v_fma_f64 v[31:32], v[3:4], 2.0, -v[27:28]
	ds_load_b128 v[1:4], v253 offset:22528
	v_fma_f64 v[119:120], v[172:173], 2.0, -v[176:177]
	v_fma_f64 v[121:122], v[174:175], 2.0, -v[178:179]
	s_wait_dscnt 0x0
	v_add_f64_e64 v[17:18], v[1:2], -v[180:181]
	v_add_f64_e64 v[19:20], v[3:4], -v[182:183]
	s_delay_alu instid0(VALU_DEP_2) | instskip(NEXT) | instid1(VALU_DEP_2)
	v_fma_f64 v[21:22], v[1:2], 2.0, -v[17:18]
	v_fma_f64 v[23:24], v[3:4], 2.0, -v[19:20]
	ds_load_b128 v[1:4], v253 offset:24576
	global_wb scope:SCOPE_SE
	s_wait_storecnt_dscnt 0x0
	s_barrier_signal -1
	s_barrier_wait -1
	global_inv scope:SCOPE_SE
	ds_store_b128 v0, v[105:108] offset:1920
	ds_store_b128 v0, v[109:112]
	v_and_b32_e32 v0, 0xffff, v155
	s_delay_alu instid0(VALU_DEP_1) | instskip(NEXT) | instid1(VALU_DEP_1)
	v_mul_u32_u24_e32 v0, 0xf0, v0
	v_add_lshl_u32 v0, v0, v158, 4
	v_add_f64_e64 v[9:10], v[1:2], -v[184:185]
	scratch_store_b32 off, v0, off offset:1508 ; 4-byte Folded Spill
	ds_store_b128 v0, v[101:104]
	ds_store_b128 v0, v[97:100] offset:1920
	v_mad_u16 v0, 0xf0, v169, v171
	v_add_f64_e64 v[11:12], v[3:4], -v[186:187]
	s_delay_alu instid0(VALU_DEP_2) | instskip(NEXT) | instid1(VALU_DEP_1)
	v_and_b32_e32 v0, 0xffff, v0
	v_lshlrev_b32_e32 v0, 4, v0
	scratch_store_b32 off, v0, off offset:1504 ; 4-byte Folded Spill
	ds_store_b128 v0, v[93:96]
	ds_store_b128 v0, v[89:92] offset:1920
	v_mad_u16 v0, 0xf0, v167, v170
	s_delay_alu instid0(VALU_DEP_1) | instskip(NEXT) | instid1(VALU_DEP_1)
	v_and_b32_e32 v0, 0xffff, v0
	v_lshlrev_b32_e32 v0, 4, v0
	scratch_store_b32 off, v0, off offset:1500 ; 4-byte Folded Spill
	ds_store_b128 v0, v[85:88]
	ds_store_b128 v0, v[81:84] offset:1920
	v_mad_u16 v0, 0xf0, v165, v168
	v_fma_f64 v[13:14], v[1:2], 2.0, -v[9:10]
	v_add_f64_e64 v[1:2], v[5:6], -v[188:189]
	s_delay_alu instid0(VALU_DEP_3) | instskip(SKIP_2) | instid1(VALU_DEP_3)
	v_and_b32_e32 v0, 0xffff, v0
	v_fma_f64 v[15:16], v[3:4], 2.0, -v[11:12]
	v_add_f64_e64 v[3:4], v[7:8], -v[190:191]
	v_lshlrev_b32_e32 v0, 4, v0
	scratch_store_b32 off, v0, off offset:1496 ; 4-byte Folded Spill
	ds_store_b128 v0, v[77:80]
	ds_store_b128 v0, v[73:76] offset:1920
	v_mad_u16 v0, 0xf0, v163, v166
	s_delay_alu instid0(VALU_DEP_1) | instskip(NEXT) | instid1(VALU_DEP_1)
	v_and_b32_e32 v0, 0xffff, v0
	v_lshlrev_b32_e32 v0, 4, v0
	scratch_store_b32 off, v0, off offset:1492 ; 4-byte Folded Spill
	ds_store_b128 v0, v[69:72]
	ds_store_b128 v0, v[65:68] offset:1920
	v_mad_u16 v0, 0xf0, v159, v164
	s_delay_alu instid0(VALU_DEP_1) | instskip(SKIP_1) | instid1(VALU_DEP_2)
	v_and_b32_e32 v0, 0xffff, v0
	v_fma_f64 v[5:6], v[5:6], 2.0, -v[1:2]
	v_lshlrev_b32_e32 v0, 4, v0
	v_fma_f64 v[7:8], v[7:8], 2.0, -v[3:4]
	scratch_store_b32 off, v0, off offset:1488 ; 4-byte Folded Spill
	ds_store_b128 v0, v[61:64]
	ds_store_b128 v0, v[57:60] offset:1920
	v_mad_u16 v0, 0xf0, v156, v162
	s_delay_alu instid0(VALU_DEP_1) | instskip(NEXT) | instid1(VALU_DEP_1)
	v_and_b32_e32 v0, 0xffff, v0
	v_lshlrev_b32_e32 v0, 4, v0
	scratch_store_b32 off, v0, off offset:1484 ; 4-byte Folded Spill
	ds_store_b128 v0, v[53:56]
	ds_store_b128 v0, v[49:52] offset:1920
	v_mad_u16 v0, 0xf0, v153, v157
	s_delay_alu instid0(VALU_DEP_1) | instskip(NEXT) | instid1(VALU_DEP_1)
	v_and_b32_e32 v0, 0xffff, v0
	v_lshlrev_b32_e32 v0, 4, v0
	;; [unrolled: 7-line block ×6, first 2 shown]
	scratch_store_b32 off, v0, off offset:1464 ; 4-byte Folded Spill
	ds_store_b128 v0, v[13:16]
	ds_store_b128 v0, v[9:12] offset:1920
	v_mad_u16 v0, 0xf0, v116, v146
	v_lshrrev_b32_e32 v146, 17, v143
	s_delay_alu instid0(VALU_DEP_2) | instskip(NEXT) | instid1(VALU_DEP_1)
	v_and_b32_e32 v0, 0xffff, v0
	v_lshlrev_b32_e32 v0, 4, v0
	scratch_store_b32 off, v0, off offset:1460 ; 4-byte Folded Spill
	ds_store_b128 v0, v[5:8]
	ds_store_b128 v0, v[1:4] offset:1920
	v_mad_u16 v0, 0xf0, v114, v144
	v_mov_b32_e32 v114, 0
	v_lshrrev_b32_e32 v144, 18, v141
	s_delay_alu instid0(VALU_DEP_3) | instskip(NEXT) | instid1(VALU_DEP_3)
	v_and_b32_e32 v0, 0xffff, v0
	v_mov_b32_e32 v116, v114
	s_delay_alu instid0(VALU_DEP_2) | instskip(NEXT) | instid1(VALU_DEP_2)
	v_lshlrev_b32_e32 v0, 4, v0
	v_cmp_gt_u64_e32 vcc_lo, 0xf0, v[115:116]
	scratch_store_b32 off, v0, off offset:1456 ; 4-byte Folded Spill
	ds_store_b128 v0, v[119:122]
	ds_store_b128 v0, v[176:179] offset:1920
	global_wb scope:SCOPE_SE
	s_wait_storecnt_dscnt 0x0
	s_barrier_signal -1
	s_barrier_wait -1
	global_inv scope:SCOPE_SE
	global_load_b128 v[7:10], v253, s[10:11] offset:3680
	ds_load_b128 v[1:4], v253 offset:30720
	global_load_b128 v[15:18], v253, s[10:11] offset:3936
	s_wait_loadcnt_dscnt 0x100
	v_mul_f64_e32 v[5:6], v[3:4], v[9:10]
	scratch_store_b128 off, v[7:10], off offset:1516 ; 16-byte Folded Spill
	s_wait_loadcnt 0x0
	scratch_store_b128 off, v[15:18], off offset:1548 ; 16-byte Folded Spill
	v_fma_f64 v[5:6], v[1:2], v[7:8], -v[5:6]
	v_mul_f64_e32 v[0:1], v[1:2], v[9:10]
	s_delay_alu instid0(VALU_DEP_1) | instskip(SKIP_4) | instid1(VALU_DEP_2)
	v_fma_f64 v[7:8], v[3:4], v[7:8], v[0:1]
	v_add_co_u32 v0, s30, 0xffffff90, v255
	s_wait_alu 0xf1ff
	v_add_co_ci_u32_e64 v1, null, 0, -1, s30
	s_wait_alu 0xfffd
	v_cndmask_b32_e32 v118, v0, v115, vcc_lo
	s_delay_alu instid0(VALU_DEP_2) | instskip(NEXT) | instid1(VALU_DEP_1)
	v_cndmask_b32_e64 v119, v1, 0, vcc_lo
	v_lshlrev_b64_e32 v[0:1], 4, v[118:119]
	s_delay_alu instid0(VALU_DEP_1) | instskip(SKIP_1) | instid1(VALU_DEP_2)
	v_add_co_u32 v0, vcc_lo, s10, v0
	s_wait_alu 0xfffd
	v_add_co_ci_u32_e32 v1, vcc_lo, s11, v1, vcc_lo
	v_cmp_lt_u64_e32 vcc_lo, 0xef, v[115:116]
	global_load_b128 v[11:14], v[0:1], off offset:3680
	ds_load_b128 v[1:4], v253 offset:32768
	s_wait_loadcnt_dscnt 0x0
	v_mul_f64_e32 v[9:10], v[3:4], v[13:14]
	scratch_store_b128 off, v[11:14], off offset:1532 ; 16-byte Folded Spill
	v_fma_f64 v[9:10], v[1:2], v[11:12], -v[9:10]
	v_mul_f64_e32 v[0:1], v[1:2], v[13:14]
	s_delay_alu instid0(VALU_DEP_1) | instskip(SKIP_3) | instid1(VALU_DEP_1)
	v_fma_f64 v[11:12], v[3:4], v[11:12], v[0:1]
	ds_load_b128 v[1:4], v253 offset:34816
	s_wait_dscnt 0x0
	v_mul_f64_e32 v[13:14], v[3:4], v[17:18]
	v_fma_f64 v[13:14], v[1:2], v[15:16], -v[13:14]
	v_mul_f64_e32 v[0:1], v[1:2], v[17:18]
	s_delay_alu instid0(VALU_DEP_1) | instskip(SKIP_3) | instid1(VALU_DEP_1)
	v_fma_f64 v[15:16], v[3:4], v[15:16], v[0:1]
	v_mul_lo_u16 v0, 0xf0, v146
	ds_load_b128 v[1:4], v253 offset:36864
	v_sub_nc_u16 v149, v113, v0
	v_and_b32_e32 v0, 0xffff, v149
	s_delay_alu instid0(VALU_DEP_1)
	v_lshlrev_b32_e32 v0, 4, v0
	global_load_b128 v[19:22], v0, s[10:11] offset:3680
	s_wait_loadcnt_dscnt 0x0
	v_mul_f64_e32 v[17:18], v[3:4], v[21:22]
	scratch_store_b128 off, v[19:22], off offset:1564 ; 16-byte Folded Spill
	v_fma_f64 v[17:18], v[1:2], v[19:20], -v[17:18]
	v_mul_f64_e32 v[0:1], v[1:2], v[21:22]
	s_delay_alu instid0(VALU_DEP_1) | instskip(SKIP_4) | instid1(VALU_DEP_1)
	v_fma_f64 v[19:20], v[3:4], v[19:20], v[0:1]
	v_lshrrev_b32_e32 v0, 18, v139
	ds_load_b128 v[1:4], v253 offset:38912
	v_lshrrev_b32_e32 v139, 19, v132
	v_mul_lo_u16 v0, 0xf0, v0
	v_sub_nc_u16 v0, v161, v0
	s_delay_alu instid0(VALU_DEP_1) | instskip(NEXT) | instid1(VALU_DEP_1)
	v_and_b32_e32 v0, 0xffff, v0
	v_lshlrev_b32_e32 v175, 4, v0
	global_load_b128 v[23:26], v175, s[10:11] offset:3680
	s_wait_loadcnt_dscnt 0x0
	v_mul_f64_e32 v[21:22], v[3:4], v[25:26]
	scratch_store_b128 off, v[23:26], off offset:1580 ; 16-byte Folded Spill
	v_fma_f64 v[21:22], v[1:2], v[23:24], -v[21:22]
	v_mul_f64_e32 v[0:1], v[1:2], v[25:26]
	s_delay_alu instid0(VALU_DEP_1) | instskip(SKIP_4) | instid1(VALU_DEP_2)
	v_fma_f64 v[23:24], v[3:4], v[23:24], v[0:1]
	v_mul_lo_u16 v0, 0xf0, v144
	ds_load_b128 v[1:4], v253 offset:40960
	v_sub_nc_u16 v148, v138, v0
	v_lshrrev_b32_e32 v138, 19, v136
	v_and_b32_e32 v0, 0xffff, v148
	s_delay_alu instid0(VALU_DEP_1)
	v_lshlrev_b32_e32 v0, 4, v0
	global_load_b128 v[27:30], v0, s[10:11] offset:3680
	s_wait_loadcnt 0x0
	scratch_store_b128 off, v[27:30], off offset:1596 ; 16-byte Folded Spill
	s_wait_dscnt 0x0
	v_mul_f64_e32 v[25:26], v[3:4], v[29:30]
	s_delay_alu instid0(VALU_DEP_1) | instskip(SKIP_1) | instid1(VALU_DEP_1)
	v_fma_f64 v[25:26], v[1:2], v[27:28], -v[25:26]
	v_mul_f64_e32 v[0:1], v[1:2], v[29:30]
	v_fma_f64 v[27:28], v[3:4], v[27:28], v[0:1]
	v_lshrrev_b32_e32 v0, 18, v142
	ds_load_b128 v[1:4], v253 offset:43008
	v_lshrrev_b32_e32 v142, 18, v124
	v_mul_lo_u16 v0, 0xf0, v0
	s_delay_alu instid0(VALU_DEP_1) | instskip(SKIP_1) | instid1(VALU_DEP_2)
	v_sub_nc_u16 v0, v140, v0
	v_lshrrev_b32_e32 v140, 19, v128
	v_and_b32_e32 v0, 0xffff, v0
	s_delay_alu instid0(VALU_DEP_1)
	v_lshlrev_b32_e32 v174, 4, v0
	global_load_b128 v[31:34], v174, s[10:11] offset:3680
	s_wait_loadcnt_dscnt 0x0
	v_mul_f64_e32 v[29:30], v[3:4], v[33:34]
	scratch_store_b128 off, v[31:34], off offset:1612 ; 16-byte Folded Spill
	v_fma_f64 v[29:30], v[1:2], v[31:32], -v[29:30]
	v_mul_f64_e32 v[0:1], v[1:2], v[33:34]
	s_delay_alu instid0(VALU_DEP_1) | instskip(SKIP_3) | instid1(VALU_DEP_1)
	v_fma_f64 v[31:32], v[3:4], v[31:32], v[0:1]
	v_mul_lo_u16 v0, 0xf0, v142
	ds_load_b128 v[1:4], v253 offset:45056
	v_sub_nc_u16 v147, v117, v0
	v_and_b32_e32 v0, 0xffff, v147
	s_delay_alu instid0(VALU_DEP_1)
	v_lshlrev_b32_e32 v0, 4, v0
	global_load_b128 v[35:38], v0, s[10:11] offset:3680
	s_wait_loadcnt_dscnt 0x0
	v_mul_f64_e32 v[33:34], v[3:4], v[37:38]
	scratch_store_b128 off, v[35:38], off offset:1628 ; 16-byte Folded Spill
	v_fma_f64 v[33:34], v[1:2], v[35:36], -v[33:34]
	v_mul_f64_e32 v[0:1], v[1:2], v[37:38]
	s_delay_alu instid0(VALU_DEP_1) | instskip(SKIP_3) | instid1(VALU_DEP_1)
	v_fma_f64 v[35:36], v[3:4], v[35:36], v[0:1]
	v_lshrrev_b32_e32 v0, 19, v126
	ds_load_b128 v[1:4], v253 offset:47104
	v_mul_lo_u16 v0, 0xf0, v0
	v_sub_nc_u16 v0, v123, v0
	s_delay_alu instid0(VALU_DEP_1) | instskip(NEXT) | instid1(VALU_DEP_1)
	v_and_b32_e32 v0, 0xffff, v0
	v_lshlrev_b32_e32 v173, 4, v0
	global_load_b128 v[39:42], v173, s[10:11] offset:3680
	s_wait_loadcnt_dscnt 0x0
	v_mul_f64_e32 v[37:38], v[3:4], v[41:42]
	scratch_store_b128 off, v[39:42], off offset:1644 ; 16-byte Folded Spill
	v_fma_f64 v[37:38], v[1:2], v[39:40], -v[37:38]
	v_mul_f64_e32 v[0:1], v[1:2], v[41:42]
	s_delay_alu instid0(VALU_DEP_1) | instskip(SKIP_3) | instid1(VALU_DEP_1)
	v_fma_f64 v[39:40], v[3:4], v[39:40], v[0:1]
	v_mul_lo_u16 v0, 0xf0, v140
	ds_load_b128 v[1:4], v253 offset:49152
	v_sub_nc_u16 v145, v125, v0
	v_and_b32_e32 v0, 0xffff, v145
	s_delay_alu instid0(VALU_DEP_1)
	v_lshlrev_b32_e32 v0, 4, v0
	global_load_b128 v[43:46], v0, s[10:11] offset:3680
	s_wait_loadcnt 0x0
	scratch_store_b128 off, v[43:46], off offset:1660 ; 16-byte Folded Spill
	s_wait_dscnt 0x0
	v_mul_f64_e32 v[41:42], v[3:4], v[45:46]
	s_delay_alu instid0(VALU_DEP_1) | instskip(SKIP_1) | instid1(VALU_DEP_1)
	v_fma_f64 v[150:151], v[1:2], v[43:44], -v[41:42]
	v_mul_f64_e32 v[0:1], v[1:2], v[45:46]
	v_fma_f64 v[152:153], v[3:4], v[43:44], v[0:1]
	v_lshrrev_b32_e32 v0, 19, v130
	ds_load_b128 v[1:4], v253 offset:51200
	v_mul_lo_u16 v0, 0xf0, v0
	s_delay_alu instid0(VALU_DEP_1) | instskip(NEXT) | instid1(VALU_DEP_1)
	v_sub_nc_u16 v0, v127, v0
	v_and_b32_e32 v0, 0xffff, v0
	s_delay_alu instid0(VALU_DEP_1)
	v_lshlrev_b32_e32 v172, 4, v0
	global_load_b128 v[43:46], v172, s[10:11] offset:3680
	s_wait_loadcnt_dscnt 0x0
	v_mul_f64_e32 v[41:42], v[3:4], v[45:46]
	scratch_store_b128 off, v[43:46], off offset:1676 ; 16-byte Folded Spill
	v_fma_f64 v[154:155], v[1:2], v[43:44], -v[41:42]
	v_mul_f64_e32 v[0:1], v[1:2], v[45:46]
	s_delay_alu instid0(VALU_DEP_1) | instskip(SKIP_3) | instid1(VALU_DEP_1)
	v_fma_f64 v[156:157], v[3:4], v[43:44], v[0:1]
	v_mul_lo_u16 v0, 0xf0, v139
	ds_load_b128 v[1:4], v253 offset:53248
	v_sub_nc_u16 v143, v129, v0
	v_and_b32_e32 v0, 0xffff, v143
	s_delay_alu instid0(VALU_DEP_1)
	v_lshlrev_b32_e32 v0, 4, v0
	global_load_b128 v[43:46], v0, s[10:11] offset:3680
	s_wait_loadcnt 0x0
	scratch_store_b128 off, v[43:46], off offset:1692 ; 16-byte Folded Spill
	s_wait_dscnt 0x0
	v_mul_f64_e32 v[41:42], v[3:4], v[45:46]
	s_delay_alu instid0(VALU_DEP_1) | instskip(SKIP_1) | instid1(VALU_DEP_1)
	v_fma_f64 v[158:159], v[1:2], v[43:44], -v[41:42]
	v_mul_f64_e32 v[0:1], v[1:2], v[45:46]
	v_fma_f64 v[160:161], v[3:4], v[43:44], v[0:1]
	v_lshrrev_b32_e32 v0, 19, v134
	ds_load_b128 v[1:4], v253 offset:55296
	v_mul_lo_u16 v0, 0xf0, v0
	s_delay_alu instid0(VALU_DEP_1) | instskip(NEXT) | instid1(VALU_DEP_1)
	v_sub_nc_u16 v0, v131, v0
	v_and_b32_e32 v0, 0xffff, v0
	s_delay_alu instid0(VALU_DEP_1)
	;; [unrolled: 31-line block ×3, first 2 shown]
	v_lshlrev_b32_e32 v170, 4, v0
	global_load_b128 v[43:46], v170, s[10:11] offset:3680
	s_wait_loadcnt_dscnt 0x0
	v_mul_f64_e32 v[41:42], v[3:4], v[45:46]
	scratch_store_b128 off, v[43:46], off offset:1740 ; 16-byte Folded Spill
	v_fma_f64 v[121:122], v[1:2], v[43:44], -v[41:42]
	v_mul_f64_e32 v[0:1], v[1:2], v[45:46]
	s_delay_alu instid0(VALU_DEP_1) | instskip(SKIP_4) | instid1(VALU_DEP_2)
	v_fma_f64 v[119:120], v[3:4], v[43:44], v[0:1]
	ds_load_b128 v[1:4], v253
	s_wait_alu 0xfffd
	v_cndmask_b32_e64 v0, 0, 0x1e0, vcc_lo
	v_cmp_gt_u64_e32 vcc_lo, 0x1e0, v[113:114]
	v_add_lshl_u32 v0, v0, v118, 4
	s_wait_dscnt 0x0
	v_add_f64_e64 v[105:106], v[1:2], -v[5:6]
	v_add_f64_e64 v[107:108], v[3:4], -v[7:8]
	ds_load_b128 v[5:8], v253 offset:26624
	v_fma_f64 v[109:110], v[1:2], 2.0, -v[105:106]
	v_fma_f64 v[111:112], v[3:4], 2.0, -v[107:108]
	ds_load_b128 v[1:4], v253 offset:2048
	s_wait_dscnt 0x0
	v_add_f64_e64 v[93:94], v[1:2], -v[9:10]
	v_add_f64_e64 v[95:96], v[3:4], -v[11:12]
	s_delay_alu instid0(VALU_DEP_2) | instskip(NEXT) | instid1(VALU_DEP_2)
	v_fma_f64 v[101:102], v[1:2], 2.0, -v[93:94]
	v_fma_f64 v[103:104], v[3:4], 2.0, -v[95:96]
	ds_load_b128 v[1:4], v253 offset:4096
	s_wait_dscnt 0x0
	v_add_f64_e64 v[89:90], v[1:2], -v[13:14]
	v_add_f64_e64 v[91:92], v[3:4], -v[15:16]
	s_delay_alu instid0(VALU_DEP_2) | instskip(NEXT) | instid1(VALU_DEP_2)
	;; [unrolled: 7-line block ×8, first 2 shown]
	v_fma_f64 v[49:50], v[1:2], 2.0, -v[41:42]
	v_fma_f64 v[51:52], v[3:4], 2.0, -v[43:44]
	ds_load_b128 v[1:4], v253 offset:18432
	s_wait_dscnt 0x0
	v_add_f64_e64 v[29:30], v[1:2], -v[150:151]
	v_add_f64_e64 v[31:32], v[3:4], -v[152:153]
	ds_load_b128 v[150:153], v253 offset:28672
	v_fma_f64 v[37:38], v[1:2], 2.0, -v[29:30]
	v_fma_f64 v[39:40], v[3:4], 2.0, -v[31:32]
	ds_load_b128 v[1:4], v253 offset:20480
	s_wait_dscnt 0x0
	v_add_f64_e64 v[25:26], v[1:2], -v[154:155]
	v_add_f64_e64 v[27:28], v[3:4], -v[156:157]
	;; [unrolled: 1-line block ×4, first 2 shown]
	s_delay_alu instid0(VALU_DEP_4) | instskip(NEXT) | instid1(VALU_DEP_4)
	v_fma_f64 v[33:34], v[1:2], 2.0, -v[25:26]
	v_fma_f64 v[35:36], v[3:4], 2.0, -v[27:28]
	ds_load_b128 v[1:4], v253 offset:22528
	v_fma_f64 v[119:120], v[150:151], 2.0, -v[154:155]
	v_fma_f64 v[121:122], v[152:153], 2.0, -v[156:157]
	s_wait_dscnt 0x0
	v_add_f64_e64 v[13:14], v[1:2], -v[158:159]
	v_add_f64_e64 v[15:16], v[3:4], -v[160:161]
	s_delay_alu instid0(VALU_DEP_2) | instskip(NEXT) | instid1(VALU_DEP_2)
	v_fma_f64 v[21:22], v[1:2], 2.0, -v[13:14]
	v_fma_f64 v[23:24], v[3:4], 2.0, -v[15:16]
	ds_load_b128 v[1:4], v253 offset:24576
	global_wb scope:SCOPE_SE
	s_wait_storecnt_dscnt 0x0
	s_barrier_signal -1
	s_barrier_wait -1
	global_inv scope:SCOPE_SE
	ds_store_b128 v253, v[105:108] offset:3840
	ds_store_b128 v253, v[109:112]
	scratch_store_b32 off, v0, off offset:1804 ; 4-byte Folded Spill
	ds_store_b128 v0, v[101:104]
	ds_store_b128 v0, v[93:96] offset:3840
	ds_store_b128 v253, v[97:100] offset:7936
	;; [unrolled: 1-line block ×3, first 2 shown]
	v_mad_u16 v0, 0x1e0, v146, v149
	s_delay_alu instid0(VALU_DEP_1) | instskip(NEXT) | instid1(VALU_DEP_1)
	v_and_b32_e32 v0, 0xffff, v0
	v_lshlrev_b32_e32 v0, 4, v0
	v_add_f64_e64 v[9:10], v[1:2], -v[162:163]
	v_add_f64_e64 v[11:12], v[3:4], -v[164:165]
	scratch_store_b32 off, v0, off offset:1800 ; 4-byte Folded Spill
	ds_store_b128 v0, v[85:88]
	ds_store_b128 v0, v[77:80] offset:3840
	v_mad_u16 v0, 0x1e0, v144, v148
	scratch_store_b32 off, v175, off offset:1796 ; 4-byte Folded Spill
	ds_store_b128 v175, v[81:84] offset:15360
	ds_store_b128 v175, v[73:76] offset:19200
	v_and_b32_e32 v0, 0xffff, v0
	s_delay_alu instid0(VALU_DEP_1)
	v_lshlrev_b32_e32 v0, 4, v0
	scratch_store_b32 off, v0, off offset:1792 ; 4-byte Folded Spill
	ds_store_b128 v0, v[69:72]
	ds_store_b128 v0, v[61:64] offset:3840
	v_mad_u16 v0, 0x1e0, v142, v147
	scratch_store_b32 off, v174, off offset:1788 ; 4-byte Folded Spill
	ds_store_b128 v174, v[65:68] offset:23040
	ds_store_b128 v174, v[57:60] offset:26880
	v_and_b32_e32 v0, 0xffff, v0
	s_delay_alu instid0(VALU_DEP_1)
	v_lshlrev_b32_e32 v0, 4, v0
	scratch_store_b32 off, v0, off offset:1784 ; 4-byte Folded Spill
	v_fma_f64 v[17:18], v[1:2], 2.0, -v[9:10]
	v_fma_f64 v[19:20], v[3:4], 2.0, -v[11:12]
	v_add_f64_e64 v[1:2], v[5:6], -v[166:167]
	v_add_f64_e64 v[3:4], v[7:8], -v[168:169]
	ds_store_b128 v0, v[53:56]
	ds_store_b128 v0, v[45:48] offset:3840
	v_mad_u16 v0, 0x1e0, v140, v145
	scratch_store_b32 off, v173, off offset:1780 ; 4-byte Folded Spill
	ds_store_b128 v173, v[49:52] offset:30720
	ds_store_b128 v173, v[41:44] offset:34560
	v_and_b32_e32 v0, 0xffff, v0
	s_delay_alu instid0(VALU_DEP_1)
	v_lshlrev_b32_e32 v0, 4, v0
	scratch_store_b32 off, v0, off offset:1776 ; 4-byte Folded Spill
	ds_store_b128 v0, v[37:40]
	ds_store_b128 v0, v[29:32] offset:3840
	v_mad_u16 v0, 0x1e0, v139, v143
	scratch_store_b32 off, v172, off offset:1772 ; 4-byte Folded Spill
	ds_store_b128 v172, v[33:36] offset:38400
	ds_store_b128 v172, v[25:28] offset:42240
	v_and_b32_e32 v0, 0xffff, v0
	s_delay_alu instid0(VALU_DEP_1)
	v_lshlrev_b32_e32 v0, 4, v0
	scratch_store_b32 off, v0, off offset:1768 ; 4-byte Folded Spill
	ds_store_b128 v0, v[21:24]
	ds_store_b128 v0, v[13:16] offset:3840
	v_mad_u16 v0, 0x1e0, v138, v141
	v_fma_f64 v[5:6], v[5:6], 2.0, -v[1:2]
	v_fma_f64 v[7:8], v[7:8], 2.0, -v[3:4]
	scratch_store_b32 off, v171, off offset:1764 ; 4-byte Folded Spill
	ds_store_b128 v171, v[17:20] offset:46080
	ds_store_b128 v171, v[9:12] offset:49920
	v_and_b32_e32 v0, 0xffff, v0
	s_delay_alu instid0(VALU_DEP_1)
	v_lshlrev_b32_e32 v0, 4, v0
	scratch_store_b32 off, v0, off offset:1760 ; 4-byte Folded Spill
	ds_store_b128 v0, v[5:8]
	ds_store_b128 v0, v[1:4] offset:3840
	scratch_store_b32 off, v170, off offset:1756 ; 4-byte Folded Spill
	ds_store_b128 v170, v[119:122] offset:53760
	ds_store_b128 v170, v[154:157] offset:57600
	global_wb scope:SCOPE_SE
	s_wait_storecnt_dscnt 0x0
	s_barrier_signal -1
	s_barrier_wait -1
	global_inv scope:SCOPE_SE
	global_load_b128 v[7:10], v253, s[10:11] offset:7520
	ds_load_b128 v[1:4], v253 offset:30720
	s_clause 0x3
	global_load_b128 v[11:14], v253, s[10:11] offset:9568
	global_load_b128 v[23:26], v253, s[10:11] offset:8032
	;; [unrolled: 1-line block ×4, first 2 shown]
	v_lshrrev_b32_e32 v122, 20, v132
	global_load_b128 v[31:34], v253, s[10:11] offset:12128
	s_wait_loadcnt_dscnt 0x500
	v_mul_f64_e32 v[5:6], v[3:4], v[9:10]
	scratch_store_b128 off, v[7:10], off offset:1808 ; 16-byte Folded Spill
	s_wait_loadcnt 0x4
	scratch_store_b128 off, v[11:14], off offset:1824 ; 16-byte Folded Spill
	s_wait_loadcnt 0x3
	;; [unrolled: 2-line block ×5, first 2 shown]
	scratch_store_b128 off, v[31:34], off offset:1908 ; 16-byte Folded Spill
	v_fma_f64 v[5:6], v[1:2], v[7:8], -v[5:6]
	v_mul_f64_e32 v[0:1], v[1:2], v[9:10]
	s_delay_alu instid0(VALU_DEP_1) | instskip(SKIP_3) | instid1(VALU_DEP_1)
	v_fma_f64 v[7:8], v[3:4], v[7:8], v[0:1]
	ds_load_b128 v[1:4], v253 offset:32768
	s_wait_dscnt 0x0
	v_mul_f64_e32 v[9:10], v[3:4], v[13:14]
	v_fma_f64 v[9:10], v[1:2], v[11:12], -v[9:10]
	v_mul_f64_e32 v[0:1], v[1:2], v[13:14]
	s_delay_alu instid0(VALU_DEP_1) | instskip(SKIP_3) | instid1(VALU_DEP_1)
	v_fma_f64 v[11:12], v[3:4], v[11:12], v[0:1]
	ds_load_b128 v[1:4], v253 offset:34816
	s_wait_dscnt 0x0
	v_mul_f64_e32 v[13:14], v[3:4], v[17:18]
	v_fma_f64 v[13:14], v[1:2], v[15:16], -v[13:14]
	v_mul_f64_e32 v[0:1], v[1:2], v[17:18]
	s_delay_alu instid0(VALU_DEP_1) | instskip(SKIP_4) | instid1(VALU_DEP_2)
	v_fma_f64 v[15:16], v[3:4], v[15:16], v[0:1]
	v_add_co_u32 v0, s30, 0xffffffa0, v255
	s_wait_alu 0xf1ff
	v_add_co_ci_u32_e64 v1, null, 0, -1, s30
	s_wait_alu 0xfffd
	v_cndmask_b32_e32 v115, v0, v113, vcc_lo
	s_delay_alu instid0(VALU_DEP_2) | instskip(NEXT) | instid1(VALU_DEP_1)
	v_cndmask_b32_e64 v116, v1, 0, vcc_lo
	v_lshlrev_b64_e32 v[0:1], 4, v[115:116]
	v_lshrrev_b32_e32 v116, 19, v124
	s_delay_alu instid0(VALU_DEP_2) | instskip(SKIP_1) | instid1(VALU_DEP_3)
	v_add_co_u32 v0, vcc_lo, s10, v0
	s_wait_alu 0xfffd
	v_add_co_ci_u32_e32 v1, vcc_lo, s11, v1, vcc_lo
	v_cmp_lt_u64_e32 vcc_lo, 0x1df, v[113:114]
	global_load_b128 v[19:22], v[0:1], off offset:7520
	ds_load_b128 v[1:4], v253 offset:36864
	s_wait_loadcnt_dscnt 0x0
	v_mul_f64_e32 v[17:18], v[3:4], v[21:22]
	scratch_store_b128 off, v[19:22], off offset:1856 ; 16-byte Folded Spill
	v_fma_f64 v[17:18], v[1:2], v[19:20], -v[17:18]
	v_mul_f64_e32 v[0:1], v[1:2], v[21:22]
	s_delay_alu instid0(VALU_DEP_1) | instskip(SKIP_3) | instid1(VALU_DEP_1)
	v_fma_f64 v[19:20], v[3:4], v[19:20], v[0:1]
	ds_load_b128 v[1:4], v253 offset:38912
	s_wait_dscnt 0x0
	v_mul_f64_e32 v[21:22], v[3:4], v[25:26]
	v_fma_f64 v[21:22], v[1:2], v[23:24], -v[21:22]
	v_mul_f64_e32 v[0:1], v[1:2], v[25:26]
	s_delay_alu instid0(VALU_DEP_1) | instskip(SKIP_3) | instid1(VALU_DEP_1)
	v_fma_f64 v[23:24], v[3:4], v[23:24], v[0:1]
	ds_load_b128 v[1:4], v253 offset:40960
	s_wait_dscnt 0x0
	v_mul_f64_e32 v[25:26], v[3:4], v[29:30]
	;; [unrolled: 7-line block ×3, first 2 shown]
	v_fma_f64 v[29:30], v[1:2], v[31:32], -v[29:30]
	v_mul_f64_e32 v[0:1], v[1:2], v[33:34]
	s_delay_alu instid0(VALU_DEP_1) | instskip(SKIP_3) | instid1(VALU_DEP_1)
	v_fma_f64 v[31:32], v[3:4], v[31:32], v[0:1]
	v_mul_lo_u16 v0, 0x1e0, v116
	ds_load_b128 v[1:4], v253 offset:45056
	v_sub_nc_u16 v124, v117, v0
	v_and_b32_e32 v0, 0xffff, v124
	s_delay_alu instid0(VALU_DEP_1)
	v_lshlrev_b32_e32 v0, 4, v0
	global_load_b128 v[35:38], v0, s[10:11] offset:7520
	s_wait_loadcnt_dscnt 0x0
	v_mul_f64_e32 v[33:34], v[3:4], v[37:38]
	scratch_store_b128 off, v[35:38], off offset:1928 ; 16-byte Folded Spill
	v_fma_f64 v[33:34], v[1:2], v[35:36], -v[33:34]
	v_mul_f64_e32 v[0:1], v[1:2], v[37:38]
	s_delay_alu instid0(VALU_DEP_1) | instskip(SKIP_3) | instid1(VALU_DEP_1)
	v_fma_f64 v[35:36], v[3:4], v[35:36], v[0:1]
	v_lshrrev_b32_e32 v0, 20, v126
	ds_load_b128 v[1:4], v253 offset:47104
	v_mul_lo_u16 v0, 0x1e0, v0
	v_sub_nc_u16 v0, v123, v0
	s_delay_alu instid0(VALU_DEP_1) | instskip(NEXT) | instid1(VALU_DEP_1)
	v_and_b32_e32 v0, 0xffff, v0
	v_lshlrev_b32_e32 v147, 4, v0
	global_load_b128 v[39:42], v147, s[10:11] offset:7520
	s_wait_loadcnt 0x0
	scratch_store_b128 off, v[39:42], off offset:1948 ; 16-byte Folded Spill
	s_wait_dscnt 0x0
	v_mul_f64_e32 v[37:38], v[3:4], v[41:42]
	s_delay_alu instid0(VALU_DEP_1) | instskip(SKIP_1) | instid1(VALU_DEP_1)
	v_fma_f64 v[37:38], v[1:2], v[39:40], -v[37:38]
	v_mul_f64_e32 v[0:1], v[1:2], v[41:42]
	v_fma_f64 v[39:40], v[3:4], v[39:40], v[0:1]
	v_lshrrev_b32_e32 v0, 20, v128
	ds_load_b128 v[1:4], v253 offset:49152
	v_mul_lo_u16 v0, 0x1e0, v0
	s_delay_alu instid0(VALU_DEP_1) | instskip(NEXT) | instid1(VALU_DEP_1)
	v_sub_nc_u16 v0, v125, v0
	v_and_b32_e32 v0, 0xffff, v0
	s_delay_alu instid0(VALU_DEP_1)
	v_lshlrev_b32_e32 v146, 4, v0
	global_load_b128 v[43:46], v146, s[10:11] offset:7520
	s_wait_loadcnt_dscnt 0x0
	v_mul_f64_e32 v[41:42], v[3:4], v[45:46]
	scratch_store_b128 off, v[43:46], off offset:1968 ; 16-byte Folded Spill
	v_fma_f64 v[41:42], v[1:2], v[43:44], -v[41:42]
	v_mul_f64_e32 v[0:1], v[1:2], v[45:46]
	s_delay_alu instid0(VALU_DEP_1) | instskip(SKIP_3) | instid1(VALU_DEP_1)
	v_fma_f64 v[43:44], v[3:4], v[43:44], v[0:1]
	v_lshrrev_b32_e32 v0, 20, v130
	ds_load_b128 v[1:4], v253 offset:51200
	v_mul_lo_u16 v0, 0x1e0, v0
	v_sub_nc_u16 v0, v127, v0
	s_delay_alu instid0(VALU_DEP_1) | instskip(NEXT) | instid1(VALU_DEP_1)
	v_and_b32_e32 v0, 0xffff, v0
	v_lshlrev_b32_e32 v145, 4, v0
	global_load_b128 v[47:50], v145, s[10:11] offset:7520
	s_wait_loadcnt 0x0
	scratch_store_b128 off, v[47:50], off offset:1988 ; 16-byte Folded Spill
	s_wait_dscnt 0x0
	v_mul_f64_e32 v[45:46], v[3:4], v[49:50]
	s_delay_alu instid0(VALU_DEP_1) | instskip(SKIP_1) | instid1(VALU_DEP_1)
	v_fma_f64 v[125:126], v[1:2], v[47:48], -v[45:46]
	v_mul_f64_e32 v[0:1], v[1:2], v[49:50]
	v_fma_f64 v[127:128], v[3:4], v[47:48], v[0:1]
	v_mul_lo_u16 v0, 0x1e0, v122
	ds_load_b128 v[1:4], v253 offset:53248
	v_sub_nc_u16 v123, v129, v0
	s_delay_alu instid0(VALU_DEP_1) | instskip(NEXT) | instid1(VALU_DEP_1)
	v_and_b32_e32 v0, 0xffff, v123
	v_lshlrev_b32_e32 v0, 4, v0
	global_load_b128 v[47:50], v0, s[10:11] offset:7520
	s_wait_loadcnt_dscnt 0x0
	v_mul_f64_e32 v[45:46], v[3:4], v[49:50]
	scratch_store_b128 off, v[47:50], off offset:2008 ; 16-byte Folded Spill
	v_fma_f64 v[129:130], v[1:2], v[47:48], -v[45:46]
	v_mul_f64_e32 v[0:1], v[1:2], v[49:50]
	s_delay_alu instid0(VALU_DEP_1) | instskip(SKIP_3) | instid1(VALU_DEP_1)
	v_fma_f64 v[138:139], v[3:4], v[47:48], v[0:1]
	v_lshrrev_b32_e32 v0, 20, v134
	ds_load_b128 v[1:4], v253 offset:55296
	v_mul_lo_u16 v0, 0x1e0, v0
	v_sub_nc_u16 v0, v131, v0
	s_delay_alu instid0(VALU_DEP_1) | instskip(NEXT) | instid1(VALU_DEP_1)
	v_and_b32_e32 v0, 0xffff, v0
	v_lshlrev_b32_e32 v144, 4, v0
	global_load_b128 v[47:50], v144, s[10:11] offset:7520
	s_wait_loadcnt 0x0
	scratch_store_b128 off, v[47:50], off offset:2024 ; 16-byte Folded Spill
	s_wait_dscnt 0x0
	v_mul_f64_e32 v[45:46], v[3:4], v[49:50]
	s_delay_alu instid0(VALU_DEP_1) | instskip(SKIP_1) | instid1(VALU_DEP_1)
	v_fma_f64 v[131:132], v[1:2], v[47:48], -v[45:46]
	v_mul_f64_e32 v[0:1], v[1:2], v[49:50]
	v_fma_f64 v[140:141], v[3:4], v[47:48], v[0:1]
	v_lshrrev_b32_e32 v0, 20, v136
	ds_load_b128 v[1:4], v253 offset:57344
	v_mul_lo_u16 v0, 0x1e0, v0
	s_delay_alu instid0(VALU_DEP_1) | instskip(NEXT) | instid1(VALU_DEP_1)
	v_sub_nc_u16 v0, v133, v0
	v_and_b32_e32 v0, 0xffff, v0
	s_delay_alu instid0(VALU_DEP_1)
	v_lshlrev_b32_e32 v136, 4, v0
	global_load_b128 v[47:50], v136, s[10:11] offset:7520
	s_wait_loadcnt_dscnt 0x0
	v_mul_f64_e32 v[45:46], v[3:4], v[49:50]
	scratch_store_b128 off, v[47:50], off offset:2044 ; 16-byte Folded Spill
	v_fma_f64 v[133:134], v[1:2], v[47:48], -v[45:46]
	v_mul_f64_e32 v[0:1], v[1:2], v[49:50]
	s_delay_alu instid0(VALU_DEP_1) | instskip(SKIP_3) | instid1(VALU_DEP_1)
	v_fma_f64 v[142:143], v[3:4], v[47:48], v[0:1]
	v_lshrrev_b32_e32 v0, 20, v137
	ds_load_b128 v[1:4], v253 offset:59392
	v_mul_lo_u16 v0, 0x1e0, v0
	v_sub_nc_u16 v0, v135, v0
	s_delay_alu instid0(VALU_DEP_1) | instskip(NEXT) | instid1(VALU_DEP_1)
	v_and_b32_e32 v0, 0xffff, v0
	v_lshlrev_b32_e32 v135, 4, v0
	global_load_b128 v[249:252], v135, s[10:11] offset:7520
	s_wait_loadcnt_dscnt 0x0
	v_mul_f64_e32 v[45:46], v[3:4], v[251:252]
	s_delay_alu instid0(VALU_DEP_1) | instskip(SKIP_1) | instid1(VALU_DEP_1)
	v_fma_f64 v[120:121], v[1:2], v[249:250], -v[45:46]
	v_mul_f64_e32 v[0:1], v[1:2], v[251:252]
	v_fma_f64 v[118:119], v[3:4], v[249:250], v[0:1]
	ds_load_b128 v[1:4], v253
	s_wait_alu 0xfffd
	v_cndmask_b32_e64 v0, 0, 0x3c0, vcc_lo
	s_delay_alu instid0(VALU_DEP_1) | instskip(SKIP_3) | instid1(VALU_DEP_2)
	v_add_lshl_u32 v0, v0, v115, 4
	s_wait_dscnt 0x0
	v_add_f64_e64 v[109:110], v[1:2], -v[5:6]
	v_add_f64_e64 v[111:112], v[3:4], -v[7:8]
	v_fma_f64 v[85:86], v[1:2], 2.0, -v[109:110]
	s_delay_alu instid0(VALU_DEP_2)
	v_fma_f64 v[87:88], v[3:4], 2.0, -v[111:112]
	ds_load_b128 v[1:4], v253 offset:2048
	s_wait_dscnt 0x0
	v_add_f64_e64 v[105:106], v[1:2], -v[9:10]
	v_add_f64_e64 v[107:108], v[3:4], -v[11:12]
	ds_load_b128 v[9:12], v253 offset:26624
	v_fma_f64 v[93:94], v[1:2], 2.0, -v[105:106]
	v_fma_f64 v[95:96], v[3:4], 2.0, -v[107:108]
	ds_load_b128 v[1:4], v253 offset:4096
	s_wait_dscnt 0x0
	v_add_f64_e64 v[101:102], v[1:2], -v[13:14]
	v_add_f64_e64 v[103:104], v[3:4], -v[15:16]
	s_delay_alu instid0(VALU_DEP_2) | instskip(NEXT) | instid1(VALU_DEP_2)
	v_fma_f64 v[97:98], v[1:2], 2.0, -v[101:102]
	v_fma_f64 v[99:100], v[3:4], 2.0, -v[103:104]
	ds_load_b128 v[1:4], v253 offset:6144
	s_wait_dscnt 0x0
	v_add_f64_e64 v[77:78], v[1:2], -v[17:18]
	v_add_f64_e64 v[79:80], v[3:4], -v[19:20]
	s_delay_alu instid0(VALU_DEP_2) | instskip(NEXT) | instid1(VALU_DEP_2)
	;; [unrolled: 7-line block ×8, first 2 shown]
	v_fma_f64 v[41:42], v[1:2], 2.0, -v[29:30]
	v_fma_f64 v[43:44], v[3:4], 2.0, -v[31:32]
	ds_load_b128 v[1:4], v253 offset:20480
	s_wait_dscnt 0x0
	v_add_f64_e64 v[25:26], v[1:2], -v[125:126]
	v_add_f64_e64 v[27:28], v[3:4], -v[127:128]
	ds_load_b128 v[125:128], v253 offset:28672
	v_fma_f64 v[33:34], v[1:2], 2.0, -v[25:26]
	v_fma_f64 v[35:36], v[3:4], 2.0, -v[27:28]
	ds_load_b128 v[1:4], v253 offset:22528
	s_wait_dscnt 0x0
	v_add_f64_e64 v[13:14], v[1:2], -v[129:130]
	v_add_f64_e64 v[15:16], v[3:4], -v[138:139]
	;; [unrolled: 1-line block ×3, first 2 shown]
	s_delay_alu instid0(VALU_DEP_3) | instskip(NEXT) | instid1(VALU_DEP_3)
	v_fma_f64 v[21:22], v[1:2], 2.0, -v[13:14]
	v_fma_f64 v[23:24], v[3:4], 2.0, -v[15:16]
	ds_load_b128 v[1:4], v253 offset:24576
	global_wb scope:SCOPE_SE
	s_wait_storecnt_dscnt 0x0
	s_barrier_signal -1
	s_barrier_wait -1
	global_inv scope:SCOPE_SE
	ds_store_b128 v253, v[109:112] offset:7680
	ds_store_b128 v253, v[105:108] offset:9728
	;; [unrolled: 1-line block ×3, first 2 shown]
	ds_store_b128 v253, v[85:88]
	ds_store_b128 v253, v[93:96] offset:2048
	ds_store_b128 v253, v[97:100] offset:4096
	scratch_store_b32 off, v0, off offset:2064 ; 4-byte Folded Spill
	ds_store_b128 v0, v[89:92]
	ds_store_b128 v0, v[77:80] offset:7680
	ds_store_b128 v253, v[81:84] offset:15872
	;; [unrolled: 1-line block ×7, first 2 shown]
	v_mad_u16 v0, 0x3c0, v116, v124
	s_delay_alu instid0(VALU_DEP_1) | instskip(NEXT) | instid1(VALU_DEP_1)
	v_and_b32_e32 v0, 0xffff, v0
	v_lshlrev_b32_e32 v0, 4, v0
	v_add_f64_e64 v[5:6], v[1:2], -v[131:132]
	v_add_f64_e64 v[7:8], v[3:4], -v[140:141]
	;; [unrolled: 1-line block ×3, first 2 shown]
	v_fma_f64 v[118:119], v[125:126], 2.0, -v[129:130]
	scratch_store_b32 off, v0, off offset:2060 ; 4-byte Folded Spill
	ds_store_b128 v0, v[53:56]
	ds_store_b128 v0, v[45:48] offset:7680
	v_mad_u16 v0, 0x3c0, v122, v123
	scratch_store_b32 off, v147, off offset:2040 ; 4-byte Folded Spill
	ds_store_b128 v147, v[49:52] offset:30720
	ds_store_b128 v147, v[37:40] offset:38400
	scratch_store_b32 off, v146, off offset:2004 ; 4-byte Folded Spill
	ds_store_b128 v146, v[41:44] offset:30720
	ds_store_b128 v146, v[29:32] offset:38400
	v_and_b32_e32 v0, 0xffff, v0
	scratch_store_b32 off, v145, off offset:1984 ; 4-byte Folded Spill
	ds_store_b128 v145, v[33:36] offset:30720
	ds_store_b128 v145, v[25:28] offset:38400
	v_lshlrev_b32_e32 v0, 4, v0
	scratch_store_b32 off, v0, off offset:1964 ; 4-byte Folded Spill
	ds_store_b128 v0, v[21:24]
	ds_store_b128 v0, v[13:16] offset:7680
	scratch_store_b32 off, v144, off offset:1944 ; 4-byte Folded Spill
	v_fma_f64 v[17:18], v[1:2], 2.0, -v[5:6]
	v_fma_f64 v[19:20], v[3:4], 2.0, -v[7:8]
	v_add_f64_e64 v[1:2], v[9:10], -v[133:134]
	v_add_f64_e64 v[3:4], v[11:12], -v[142:143]
	v_fma_f64 v[120:121], v[127:128], 2.0, -v[131:132]
	ds_store_b128 v144, v[17:20] offset:46080
	ds_store_b128 v144, v[5:8] offset:53760
	v_fma_f64 v[9:10], v[9:10], 2.0, -v[1:2]
	v_fma_f64 v[11:12], v[11:12], 2.0, -v[3:4]
	scratch_store_b32 off, v136, off offset:1924 ; 4-byte Folded Spill
	ds_store_b128 v136, v[9:12] offset:46080
	ds_store_b128 v136, v[1:4] offset:53760
	scratch_store_b32 off, v135, off offset:1872 ; 4-byte Folded Spill
	ds_store_b128 v135, v[118:121] offset:46080
	ds_store_b128 v135, v[129:132] offset:53760
	global_wb scope:SCOPE_SE
	s_wait_storecnt_dscnt 0x0
	s_barrier_signal -1
	s_barrier_wait -1
	global_inv scope:SCOPE_SE
	global_load_b128 v[245:248], v253, s[10:11] offset:15200
	ds_load_b128 v[1:4], v253 offset:30720
	s_clause 0xb
	global_load_b128 v[241:244], v253, s[10:11] offset:17248
	global_load_b128 v[213:216], v253, s[10:11] offset:16224
	;; [unrolled: 1-line block ×12, first 2 shown]
	v_mov_b32_e32 v118, v114
	global_load_b128 v[189:192], v253, s[10:11] offset:28512
	v_cmp_gt_u64_e32 vcc_lo, 0x3c0, v[117:118]
	s_wait_loadcnt_dscnt 0xd00
	v_mul_f64_e32 v[5:6], v[3:4], v[247:248]
	s_delay_alu instid0(VALU_DEP_1) | instskip(SKIP_1) | instid1(VALU_DEP_1)
	v_fma_f64 v[5:6], v[1:2], v[245:246], -v[5:6]
	v_mul_f64_e32 v[0:1], v[1:2], v[247:248]
	v_fma_f64 v[7:8], v[3:4], v[245:246], v[0:1]
	ds_load_b128 v[1:4], v253 offset:32768
	s_wait_loadcnt_dscnt 0xc00
	v_mul_f64_e32 v[9:10], v[3:4], v[243:244]
	s_delay_alu instid0(VALU_DEP_1) | instskip(SKIP_1) | instid1(VALU_DEP_1)
	v_fma_f64 v[9:10], v[1:2], v[241:242], -v[9:10]
	v_mul_f64_e32 v[0:1], v[1:2], v[243:244]
	v_fma_f64 v[11:12], v[3:4], v[241:242], v[0:1]
	ds_load_b128 v[1:4], v253 offset:34816
	;; [unrolled: 7-line block ×6, first 2 shown]
	s_wait_loadcnt_dscnt 0x200
	v_mul_f64_e32 v[29:30], v[3:4], v[223:224]
	s_delay_alu instid0(VALU_DEP_1) | instskip(SKIP_1) | instid1(VALU_DEP_1)
	v_fma_f64 v[29:30], v[1:2], v[221:222], -v[29:30]
	v_mul_f64_e32 v[0:1], v[1:2], v[223:224]
	v_fma_f64 v[31:32], v[3:4], v[221:222], v[0:1]
	v_add_co_u32 v0, s30, 0xffffffc0, v255
	s_wait_alu 0xf1ff
	v_add_co_ci_u32_e64 v1, null, 0, -1, s30
	s_wait_alu 0xfffd
	s_delay_alu instid0(VALU_DEP_2) | instskip(NEXT) | instid1(VALU_DEP_2)
	v_cndmask_b32_e32 v113, v0, v117, vcc_lo
	v_cndmask_b32_e64 v114, v1, 0, vcc_lo
	s_delay_alu instid0(VALU_DEP_1) | instskip(NEXT) | instid1(VALU_DEP_1)
	v_lshlrev_b64_e32 v[0:1], 4, v[113:114]
	v_add_co_u32 v0, vcc_lo, s10, v0
	s_wait_alu 0xfffd
	s_delay_alu instid0(VALU_DEP_2)
	v_add_co_ci_u32_e32 v1, vcc_lo, s11, v1, vcc_lo
	v_cmp_lt_u64_e32 vcc_lo, 0x3bf, v[117:118]
	global_load_b128 v[217:220], v[0:1], off offset:15200
	ds_load_b128 v[1:4], v253 offset:45056
	s_wait_loadcnt_dscnt 0x0
	v_mul_f64_e32 v[33:34], v[3:4], v[219:220]
	s_delay_alu instid0(VALU_DEP_1) | instskip(SKIP_1) | instid1(VALU_DEP_1)
	v_fma_f64 v[33:34], v[1:2], v[217:218], -v[33:34]
	v_mul_f64_e32 v[0:1], v[1:2], v[219:220]
	v_fma_f64 v[35:36], v[3:4], v[217:218], v[0:1]
	ds_load_b128 v[1:4], v253 offset:47104
	s_wait_dscnt 0x0
	v_mul_f64_e32 v[37:38], v[3:4], v[215:216]
	s_delay_alu instid0(VALU_DEP_1) | instskip(SKIP_1) | instid1(VALU_DEP_1)
	v_fma_f64 v[37:38], v[1:2], v[213:214], -v[37:38]
	v_mul_f64_e32 v[0:1], v[1:2], v[215:216]
	v_fma_f64 v[39:40], v[3:4], v[213:214], v[0:1]
	ds_load_b128 v[1:4], v253 offset:49152
	s_wait_dscnt 0x0
	;; [unrolled: 7-line block ×7, first 2 shown]
	v_mul_f64_e32 v[41:42], v[3:4], v[191:192]
	s_delay_alu instid0(VALU_DEP_1) | instskip(SKIP_1) | instid1(VALU_DEP_1)
	v_fma_f64 v[119:120], v[1:2], v[189:190], -v[41:42]
	v_mul_f64_e32 v[0:1], v[1:2], v[191:192]
	v_fma_f64 v[114:115], v[3:4], v[189:190], v[0:1]
	ds_load_b128 v[1:4], v253
	s_wait_alu 0xfffd
	v_cndmask_b32_e64 v0, 0, 0x780, vcc_lo
	s_delay_alu instid0(VALU_DEP_1) | instskip(SKIP_3) | instid1(VALU_DEP_2)
	v_add_lshl_u32 v0, v0, v113, 4
	s_wait_dscnt 0x0
	v_add_f64_e64 v[109:110], v[1:2], -v[5:6]
	v_add_f64_e64 v[111:112], v[3:4], -v[7:8]
	v_fma_f64 v[41:42], v[1:2], 2.0, -v[109:110]
	s_delay_alu instid0(VALU_DEP_2)
	v_fma_f64 v[43:44], v[3:4], 2.0, -v[111:112]
	ds_load_b128 v[1:4], v253 offset:2048
	s_wait_dscnt 0x0
	v_add_f64_e64 v[105:106], v[1:2], -v[9:10]
	v_add_f64_e64 v[107:108], v[3:4], -v[11:12]
	ds_load_b128 v[9:12], v253 offset:26624
	v_fma_f64 v[45:46], v[1:2], 2.0, -v[105:106]
	v_fma_f64 v[47:48], v[3:4], 2.0, -v[107:108]
	ds_load_b128 v[1:4], v253 offset:4096
	s_wait_dscnt 0x0
	v_add_f64_e64 v[101:102], v[1:2], -v[13:14]
	v_add_f64_e64 v[103:104], v[3:4], -v[15:16]
	s_delay_alu instid0(VALU_DEP_2) | instskip(NEXT) | instid1(VALU_DEP_2)
	v_fma_f64 v[57:58], v[1:2], 2.0, -v[101:102]
	v_fma_f64 v[59:60], v[3:4], 2.0, -v[103:104]
	ds_load_b128 v[1:4], v253 offset:6144
	s_wait_dscnt 0x0
	v_add_f64_e64 v[97:98], v[1:2], -v[17:18]
	v_add_f64_e64 v[99:100], v[3:4], -v[19:20]
	s_delay_alu instid0(VALU_DEP_2) | instskip(NEXT) | instid1(VALU_DEP_2)
	;; [unrolled: 7-line block ×8, first 2 shown]
	v_fma_f64 v[49:50], v[1:2], 2.0, -v[33:34]
	v_fma_f64 v[51:52], v[3:4], 2.0, -v[35:36]
	ds_load_b128 v[1:4], v253 offset:20480
	s_wait_dscnt 0x0
	v_add_f64_e64 v[21:22], v[1:2], -v[121:122]
	v_add_f64_e64 v[23:24], v[3:4], -v[123:124]
	ds_load_b128 v[121:124], v253 offset:28672
	v_fma_f64 v[29:30], v[1:2], 2.0, -v[21:22]
	v_fma_f64 v[31:32], v[3:4], 2.0, -v[23:24]
	ds_load_b128 v[1:4], v253 offset:22528
	s_wait_dscnt 0x0
	v_add_f64_e64 v[17:18], v[1:2], -v[125:126]
	v_add_f64_e64 v[19:20], v[3:4], -v[127:128]
	;; [unrolled: 1-line block ×4, first 2 shown]
	s_delay_alu instid0(VALU_DEP_4) | instskip(NEXT) | instid1(VALU_DEP_4)
	v_fma_f64 v[25:26], v[1:2], 2.0, -v[17:18]
	v_fma_f64 v[27:28], v[3:4], 2.0, -v[19:20]
	ds_load_b128 v[1:4], v253 offset:24576
	v_fma_f64 v[119:120], v[121:122], 2.0, -v[125:126]
	v_fma_f64 v[121:122], v[123:124], 2.0, -v[127:128]
	global_wb scope:SCOPE_SE
	s_wait_dscnt 0x0
	s_barrier_signal -1
	s_barrier_wait -1
	global_inv scope:SCOPE_SE
	ds_store_b128 v253, v[109:112] offset:15360
	ds_store_b128 v253, v[105:108] offset:17408
	;; [unrolled: 1-line block ×7, first 2 shown]
	ds_store_b128 v253, v[41:44]
	ds_store_b128 v253, v[45:48] offset:2048
	ds_store_b128 v253, v[57:60] offset:4096
	;; [unrolled: 1-line block ×6, first 2 shown]
	scratch_store_b32 off, v0, off offset:2068 ; 4-byte Folded Spill
	v_add_f64_e64 v[5:6], v[1:2], -v[129:130]
	v_add_f64_e64 v[7:8], v[3:4], -v[131:132]
	s_delay_alu instid0(VALU_DEP_2) | instskip(NEXT) | instid1(VALU_DEP_2)
	v_fma_f64 v[13:14], v[1:2], 2.0, -v[5:6]
	v_fma_f64 v[15:16], v[3:4], 2.0, -v[7:8]
	v_add_f64_e64 v[1:2], v[9:10], -v[133:134]
	v_add_f64_e64 v[3:4], v[11:12], -v[135:136]
	s_delay_alu instid0(VALU_DEP_2) | instskip(NEXT) | instid1(VALU_DEP_2)
	v_fma_f64 v[9:10], v[9:10], 2.0, -v[1:2]
	v_fma_f64 v[11:12], v[11:12], 2.0, -v[3:4]
	ds_store_b128 v0, v[69:72]
	ds_store_b128 v0, v[53:56] offset:15360
	ds_store_b128 v253, v[65:68] offset:31744
	;; [unrolled: 1-line block ×15, first 2 shown]
	global_wb scope:SCOPE_SE
	s_wait_storecnt_dscnt 0x0
	s_barrier_signal -1
	s_barrier_wait -1
	global_inv scope:SCOPE_SE
	s_clause 0x3
	global_load_b128 v[125:128], v253, s[10:11] offset:30560
	global_load_b128 v[169:172], v253, s[10:11] offset:32608
	;; [unrolled: 1-line block ×4, first 2 shown]
	ds_load_b128 v[1:4], v253 offset:30720
	ds_load_b128 v[113:116], v253 offset:28672
	s_clause 0xa
	global_load_b128 v[177:180], v253, s[10:11] offset:38752
	global_load_b128 v[173:176], v253, s[10:11] offset:40800
	;; [unrolled: 1-line block ×11, first 2 shown]
	s_wait_loadcnt_dscnt 0xe01
	v_mul_f64_e32 v[5:6], v[3:4], v[127:128]
	s_delay_alu instid0(VALU_DEP_1) | instskip(SKIP_1) | instid1(VALU_DEP_1)
	v_fma_f64 v[5:6], v[1:2], v[125:126], -v[5:6]
	v_mul_f64_e32 v[0:1], v[1:2], v[127:128]
	v_fma_f64 v[7:8], v[3:4], v[125:126], v[0:1]
	ds_load_b128 v[1:4], v253 offset:32768
	s_wait_loadcnt_dscnt 0xd00
	v_mul_f64_e32 v[9:10], v[3:4], v[171:172]
	s_delay_alu instid0(VALU_DEP_1) | instskip(SKIP_1) | instid1(VALU_DEP_1)
	v_fma_f64 v[9:10], v[1:2], v[169:170], -v[9:10]
	v_mul_f64_e32 v[0:1], v[1:2], v[171:172]
	v_fma_f64 v[11:12], v[3:4], v[169:170], v[0:1]
	ds_load_b128 v[1:4], v253 offset:34816
	;; [unrolled: 7-line block ×14, first 2 shown]
	s_wait_loadcnt_dscnt 0x0
	v_mul_f64_e32 v[61:62], v[3:4], v[131:132]
	s_delay_alu instid0(VALU_DEP_1) | instskip(SKIP_1) | instid1(VALU_DEP_1)
	v_fma_f64 v[163:164], v[1:2], v[129:130], -v[61:62]
	v_mul_f64_e32 v[0:1], v[1:2], v[131:132]
	v_fma_f64 v[121:122], v[3:4], v[129:130], v[0:1]
	ds_load_b128 v[1:4], v253
	s_wait_dscnt 0x0
	v_add_f64_e64 v[109:110], v[1:2], -v[5:6]
	v_add_f64_e64 v[111:112], v[3:4], -v[7:8]
	ds_load_b128 v[5:8], v253 offset:2048
	s_wait_dscnt 0x0
	v_add_f64_e64 v[105:106], v[5:6], -v[9:10]
	v_add_f64_e64 v[107:108], v[7:8], -v[11:12]
	ds_load_b128 v[9:12], v253 offset:4096
	v_fma_f64 v[117:118], v[1:2], 2.0, -v[109:110]
	v_fma_f64 v[119:120], v[3:4], 2.0, -v[111:112]
	v_add_f64_e64 v[0:1], v[113:114], -v[163:164]
	v_add_f64_e64 v[2:3], v[115:116], -v[121:122]
	s_wait_dscnt 0x0
	v_add_f64_e64 v[101:102], v[9:10], -v[13:14]
	v_add_f64_e64 v[103:104], v[11:12], -v[15:16]
	ds_load_b128 v[13:16], v253 offset:6144
	v_fma_f64 v[5:6], v[5:6], 2.0, -v[105:106]
	v_fma_f64 v[7:8], v[7:8], 2.0, -v[107:108]
	s_wait_dscnt 0x0
	v_add_f64_e64 v[97:98], v[13:14], -v[17:18]
	v_add_f64_e64 v[99:100], v[15:16], -v[19:20]
	ds_load_b128 v[17:20], v253 offset:8192
	v_fma_f64 v[113:114], v[113:114], 2.0, -v[0:1]
	v_fma_f64 v[115:116], v[115:116], 2.0, -v[2:3]
	;; [unrolled: 1-line block ×4, first 2 shown]
	s_wait_dscnt 0x0
	v_add_f64_e64 v[93:94], v[17:18], -v[21:22]
	v_add_f64_e64 v[95:96], v[19:20], -v[23:24]
	ds_load_b128 v[21:24], v253 offset:10240
	v_fma_f64 v[13:14], v[13:14], 2.0, -v[97:98]
	v_fma_f64 v[15:16], v[15:16], 2.0, -v[99:100]
	s_wait_dscnt 0x0
	v_add_f64_e64 v[89:90], v[21:22], -v[25:26]
	v_add_f64_e64 v[91:92], v[23:24], -v[27:28]
	ds_load_b128 v[25:28], v253 offset:12288
	v_fma_f64 v[17:18], v[17:18], 2.0, -v[93:94]
	v_fma_f64 v[19:20], v[19:20], 2.0, -v[95:96]
	;; [unrolled: 6-line block ×9, first 2 shown]
	s_wait_dscnt 0x0
	v_add_f64_e64 v[57:58], v[53:54], -v[57:58]
	v_add_f64_e64 v[59:60], v[55:56], -v[59:60]
	v_fma_f64 v[49:50], v[49:50], 2.0, -v[61:62]
	v_fma_f64 v[51:52], v[51:52], 2.0, -v[63:64]
	s_delay_alu instid0(VALU_DEP_4) | instskip(NEXT) | instid1(VALU_DEP_4)
	v_fma_f64 v[53:54], v[53:54], 2.0, -v[57:58]
	v_fma_f64 v[55:56], v[55:56], 2.0, -v[59:60]
	ds_store_b128 v253, v[109:112] offset:30720
	ds_store_b128 v253, v[105:108] offset:32768
	;; [unrolled: 1-line block ×15, first 2 shown]
	ds_store_b128 v253, v[117:120]
	ds_store_b128 v253, v[5:8] offset:2048
	ds_store_b128 v253, v[9:12] offset:4096
	;; [unrolled: 1-line block ×14, first 2 shown]
	global_wb scope:SCOPE_SE
	s_wait_dscnt 0x0
	s_barrier_signal -1
	s_barrier_wait -1
	global_inv scope:SCOPE_SE
	global_load_b128 v[0:3], v253, s[8:9] offset:61440
	ds_load_b128 v[4:7], v253
	s_add_nc_u64 s[8:9], s[8:9], 0xf000
	global_load_b128 v[117:120], v253, s[8:9] offset:53248
	s_wait_loadcnt_dscnt 0x100
	v_mul_f64_e32 v[8:9], v[6:7], v[2:3]
	v_mul_f64_e32 v[2:3], v[4:5], v[2:3]
	s_delay_alu instid0(VALU_DEP_2) | instskip(NEXT) | instid1(VALU_DEP_2)
	v_fma_f64 v[121:122], v[4:5], v[0:1], -v[8:9]
	v_fma_f64 v[123:124], v[6:7], v[0:1], v[2:3]
	global_load_b128 v[0:3], v253, s[8:9] offset:6144
	ds_load_b128 v[4:7], v253 offset:6144
	s_wait_loadcnt_dscnt 0x0
	v_mul_f64_e32 v[8:9], v[6:7], v[2:3]
	v_mul_f64_e32 v[2:3], v[4:5], v[2:3]
	s_delay_alu instid0(VALU_DEP_2) | instskip(NEXT) | instid1(VALU_DEP_2)
	v_fma_f64 v[113:114], v[4:5], v[0:1], -v[8:9]
	v_fma_f64 v[115:116], v[6:7], v[0:1], v[2:3]
	global_load_b128 v[0:3], v253, s[8:9] offset:12288
	ds_load_b128 v[4:7], v253 offset:12288
	;; [unrolled: 8-line block ×27, first 2 shown]
	s_wait_loadcnt_dscnt 0x0
	v_mul_f64_e32 v[9:10], v[7:8], v[2:3]
	v_mul_f64_e32 v[2:3], v[5:6], v[2:3]
	s_delay_alu instid0(VALU_DEP_2) | instskip(NEXT) | instid1(VALU_DEP_2)
	v_fma_f64 v[9:10], v[5:6], v[0:1], -v[9:10]
	v_fma_f64 v[11:12], v[7:8], v[0:1], v[2:3]
	ds_load_b128 v[1:4], v253 offset:53248
	s_wait_dscnt 0x0
	v_mul_f64_e32 v[5:6], v[3:4], v[119:120]
	v_mul_f64_e32 v[7:8], v[1:2], v[119:120]
	s_delay_alu instid0(VALU_DEP_2) | instskip(NEXT) | instid1(VALU_DEP_2)
	v_fma_f64 v[5:6], v[1:2], v[117:118], -v[5:6]
	v_fma_f64 v[7:8], v[3:4], v[117:118], v[7:8]
	global_load_b128 v[117:120], v253, s[8:9] offset:59392
	ds_load_b128 v[0:3], v253 offset:59392
	s_wait_loadcnt_dscnt 0x0
	v_mul_f64_e32 v[161:162], v[2:3], v[119:120]
	v_mul_f64_e32 v[119:120], v[0:1], v[119:120]
	s_delay_alu instid0(VALU_DEP_2) | instskip(NEXT) | instid1(VALU_DEP_2)
	v_fma_f64 v[0:1], v[0:1], v[117:118], -v[161:162]
	v_fma_f64 v[2:3], v[2:3], v[117:118], v[119:120]
	ds_store_b128 v253, v[121:124]
	ds_store_b128 v253, v[113:116] offset:6144
	ds_store_b128 v253, v[109:112] offset:12288
	ds_store_b128 v253, v[105:108] offset:18432
	ds_store_b128 v253, v[101:104] offset:24576
	ds_store_b128 v253, v[97:100] offset:30720
	ds_store_b128 v253, v[93:96] offset:36864
	ds_store_b128 v253, v[89:92] offset:43008
	ds_store_b128 v253, v[85:88] offset:49152
	ds_store_b128 v253, v[81:84] offset:55296
	ds_store_b128 v253, v[77:80] offset:2048
	ds_store_b128 v253, v[73:76] offset:8192
	ds_store_b128 v253, v[49:52] offset:14336
	ds_store_b128 v253, v[53:56] offset:20480
	ds_store_b128 v253, v[57:60] offset:26624
	ds_store_b128 v253, v[61:64] offset:32768
	ds_store_b128 v253, v[65:68] offset:38912
	ds_store_b128 v253, v[69:72] offset:45056
	ds_store_b128 v253, v[45:48] offset:51200
	ds_store_b128 v253, v[41:44] offset:57344
	ds_store_b128 v253, v[37:40] offset:4096
	ds_store_b128 v253, v[33:36] offset:10240
	ds_store_b128 v253, v[29:32] offset:16384
	ds_store_b128 v253, v[25:28] offset:22528
	ds_store_b128 v253, v[21:24] offset:28672
	ds_store_b128 v253, v[17:20] offset:34816
	ds_store_b128 v253, v[13:16] offset:40960
	ds_store_b128 v253, v[9:12] offset:47104
	ds_store_b128 v253, v[5:8] offset:53248
	ds_store_b128 v253, v[0:3] offset:59392
	global_wb scope:SCOPE_SE
	s_wait_dscnt 0x0
	s_barrier_signal -1
	s_barrier_wait -1
	global_inv scope:SCOPE_SE
	ds_load_b128 v[0:3], v253
	ds_load_b128 v[4:7], v253 offset:12288
	ds_load_b128 v[8:11], v253 offset:24576
	s_wait_dscnt 0x1
	v_add_f64_e32 v[12:13], v[0:1], v[4:5]
	s_wait_dscnt 0x0
	v_add_f64_e64 v[24:25], v[4:5], -v[8:9]
	v_add_f64_e64 v[26:27], v[8:9], -v[4:5]
	;; [unrolled: 1-line block ×4, first 2 shown]
	v_add_f64_e32 v[16:17], v[12:13], v[8:9]
	v_add_f64_e32 v[12:13], v[2:3], v[6:7]
	s_delay_alu instid0(VALU_DEP_1)
	v_add_f64_e32 v[18:19], v[12:13], v[10:11]
	ds_load_b128 v[12:15], v253 offset:36864
	s_wait_dscnt 0x0
	v_add_f64_e32 v[20:21], v[8:9], v[12:13]
	v_add_f64_e64 v[22:23], v[10:11], -v[14:15]
	v_add_f64_e32 v[28:29], v[10:11], v[14:15]
	v_add_f64_e64 v[30:31], v[8:9], -v[12:13]
	ds_load_b128 v[8:11], v253 offset:49152
	s_wait_dscnt 0x0
	v_add_f64_e64 v[36:37], v[6:7], -v[10:11]
	v_add_f64_e32 v[38:39], v[4:5], v[8:9]
	v_add_f64_e64 v[40:41], v[4:5], -v[8:9]
	v_add_f64_e32 v[42:43], v[6:7], v[10:11]
	v_add_f64_e32 v[4:5], v[16:17], v[12:13]
	;; [unrolled: 1-line block ×3, first 2 shown]
	v_add_f64_e64 v[44:45], v[8:9], -v[12:13]
	v_add_f64_e64 v[46:47], v[12:13], -v[8:9]
	;; [unrolled: 1-line block ×4, first 2 shown]
	v_fma_f64 v[20:21], v[20:21], -0.5, v[0:1]
	v_fma_f64 v[28:29], v[28:29], -0.5, v[2:3]
	;; [unrolled: 1-line block ×4, first 2 shown]
	v_add_f64_e32 v[52:53], v[4:5], v[8:9]
	v_add_f64_e32 v[54:55], v[6:7], v[10:11]
	ds_load_b128 v[4:7], v253 offset:6144
	ds_load_b128 v[8:11], v253 offset:18432
	;; [unrolled: 1-line block ×3, first 2 shown]
	v_add_f64_e32 v[26:27], v[26:27], v[46:47]
	s_wait_dscnt 0x1
	v_add_f64_e32 v[16:17], v[4:5], v[8:9]
	s_wait_dscnt 0x0
	v_add_f64_e64 v[62:63], v[8:9], -v[12:13]
	v_add_f64_e64 v[78:79], v[12:13], -v[8:9]
	;; [unrolled: 1-line block ×4, first 2 shown]
	v_add_f64_e32 v[56:57], v[16:17], v[12:13]
	v_add_f64_e32 v[16:17], v[6:7], v[10:11]
	s_delay_alu instid0(VALU_DEP_1)
	v_add_f64_e32 v[58:59], v[16:17], v[14:15]
	ds_load_b128 v[16:19], v253 offset:43008
	s_wait_dscnt 0x0
	v_add_f64_e32 v[64:65], v[14:15], v[18:19]
	v_add_f64_e32 v[56:57], v[56:57], v[16:17]
	;; [unrolled: 1-line block ×3, first 2 shown]
	v_add_f64_e64 v[76:77], v[14:15], -v[18:19]
	v_add_f64_e64 v[80:81], v[12:13], -v[16:17]
	ds_load_b128 v[12:15], v253 offset:55296
	v_add_f64_e32 v[58:59], v[58:59], v[18:19]
	s_wait_dscnt 0x0
	v_add_f64_e32 v[66:67], v[8:9], v[12:13]
	v_add_f64_e64 v[8:9], v[8:9], -v[12:13]
	v_add_f64_e64 v[70:71], v[12:13], -v[16:17]
	v_add_f64_e64 v[16:17], v[16:17], -v[12:13]
	v_add_f64_e64 v[84:85], v[10:11], -v[14:15]
	v_add_f64_e32 v[10:11], v[10:11], v[14:15]
	v_add_f64_e64 v[72:73], v[14:15], -v[18:19]
	v_add_f64_e64 v[18:19], v[18:19], -v[14:15]
	v_fma_f64 v[38:39], v[64:65], -0.5, v[6:7]
	v_add_f64_e32 v[12:13], v[56:57], v[12:13]
	v_fma_f64 v[42:43], v[60:61], -0.5, v[4:5]
	v_add_f64_e32 v[14:15], v[58:59], v[14:15]
	;; [unrolled: 2-line block ×4, first 2 shown]
	v_add_f64_e32 v[24:25], v[68:69], v[72:73]
	v_add_f64_e32 v[18:19], v[82:83], v[18:19]
	;; [unrolled: 1-line block ×3, first 2 shown]
	v_add_f64_e64 v[116:117], v[52:53], -v[12:13]
	v_add_f64_e32 v[12:13], v[32:33], v[48:49]
	v_fma_f64 v[32:33], v[8:9], s[16:17], v[38:39]
	v_fma_f64 v[44:45], v[84:85], s[18:19], v[42:43]
	;; [unrolled: 1-line block ×3, first 2 shown]
	v_add_f64_e32 v[66:67], v[54:55], v[14:15]
	v_add_f64_e64 v[118:119], v[54:55], -v[14:15]
	v_add_f64_e32 v[14:15], v[62:63], v[70:71]
	v_fma_f64 v[32:33], v[80:81], s[2:3], v[32:33]
	v_fma_f64 v[44:45], v[76:77], s[14:15], v[44:45]
	v_fma_f64 v[52:53], v[30:31], s[2:3], v[52:53]
	s_delay_alu instid0(VALU_DEP_3) | instskip(NEXT) | instid1(VALU_DEP_3)
	v_fma_f64 v[32:33], v[24:25], s[12:13], v[32:33]
	v_fma_f64 v[44:45], v[14:15], s[12:13], v[44:45]
	s_delay_alu instid0(VALU_DEP_3) | instskip(NEXT) | instid1(VALU_DEP_3)
	v_fma_f64 v[52:53], v[12:13], s[12:13], v[52:53]
	v_mul_f64_e32 v[48:49], s[14:15], v[32:33]
	s_delay_alu instid0(VALU_DEP_1) | instskip(SKIP_1) | instid1(VALU_DEP_1)
	v_fma_f64 v[48:49], v[44:45], s[20:21], v[48:49]
	v_mul_f64_e32 v[44:45], s[2:3], v[44:45]
	v_fma_f64 v[32:33], v[32:33], s[20:21], v[44:45]
	v_fma_f64 v[44:45], v[36:37], s[18:19], v[20:21]
	s_delay_alu instid0(VALU_DEP_2) | instskip(NEXT) | instid1(VALU_DEP_2)
	v_add_f64_e32 v[70:71], v[52:53], v[32:33]
	v_fma_f64 v[44:45], v[22:23], s[14:15], v[44:45]
	v_add_f64_e64 v[74:75], v[52:53], -v[32:33]
	v_add_f64_e32 v[32:33], v[34:35], v[50:51]
	v_fma_f64 v[34:35], v[80:81], s[18:19], v[6:7]
	v_fma_f64 v[6:7], v[80:81], s[16:17], v[6:7]
	;; [unrolled: 1-line block ×3, first 2 shown]
	s_delay_alu instid0(VALU_DEP_3) | instskip(NEXT) | instid1(VALU_DEP_3)
	v_fma_f64 v[34:35], v[8:9], s[2:3], v[34:35]
	v_fma_f64 v[6:7], v[8:9], s[14:15], v[6:7]
	s_delay_alu instid0(VALU_DEP_3)
	v_add_f64_e32 v[68:69], v[44:45], v[48:49]
	v_add_f64_e64 v[72:73], v[44:45], -v[48:49]
	v_fma_f64 v[44:45], v[76:77], s[16:17], v[4:5]
	v_fma_f64 v[34:35], v[18:19], s[12:13], v[34:35]
	v_fma_f64 v[4:5], v[76:77], s[18:19], v[4:5]
	v_fma_f64 v[6:7], v[18:19], s[12:13], v[6:7]
	v_fma_f64 v[48:49], v[30:31], s[18:19], v[2:3]
	v_fma_f64 v[2:3], v[30:31], s[16:17], v[2:3]
	v_fma_f64 v[44:45], v[84:85], s[14:15], v[44:45]
	v_mul_f64_e32 v[46:47], s[18:19], v[34:35]
	v_mul_f64_e32 v[34:35], s[12:13], v[34:35]
	v_fma_f64 v[4:5], v[84:85], s[2:3], v[4:5]
	v_fma_f64 v[48:49], v[40:41], s[2:3], v[48:49]
	;; [unrolled: 1-line block ×4, first 2 shown]
	s_delay_alu instid0(VALU_DEP_4)
	v_fma_f64 v[4:5], v[16:17], s[12:13], v[4:5]
	v_mul_f64_e32 v[16:17], s[18:19], v[6:7]
	v_mul_f64_e32 v[6:7], s[22:23], v[6:7]
	v_fma_f64 v[2:3], v[32:33], s[12:13], v[2:3]
	v_fma_f64 v[48:49], v[32:33], s[12:13], v[48:49]
	;; [unrolled: 1-line block ×9, first 2 shown]
	v_add_f64_e32 v[58:59], v[48:49], v[34:35]
	v_fma_f64 v[44:45], v[36:37], s[14:15], v[44:45]
	v_fma_f64 v[0:1], v[36:37], s[2:3], v[0:1]
	v_add_f64_e64 v[62:63], v[48:49], -v[34:35]
	v_add_f64_e64 v[54:55], v[2:3], -v[4:5]
	v_fma_f64 v[6:7], v[76:77], s[2:3], v[6:7]
	v_fma_f64 v[44:45], v[26:27], s[12:13], v[44:45]
	;; [unrolled: 1-line block ×3, first 2 shown]
	s_delay_alu instid0(VALU_DEP_3) | instskip(NEXT) | instid1(VALU_DEP_3)
	v_fma_f64 v[6:7], v[14:15], s[12:13], v[6:7]
	v_add_f64_e32 v[56:57], v[44:45], v[46:47]
	v_add_f64_e64 v[60:61], v[44:45], -v[46:47]
	s_delay_alu instid0(VALU_DEP_4)
	v_add_f64_e32 v[44:45], v[0:1], v[16:17]
	v_add_f64_e64 v[52:53], v[0:1], -v[16:17]
	v_fma_f64 v[0:1], v[8:9], s[18:19], v[38:39]
	v_add_f64_e32 v[46:47], v[2:3], v[4:5]
	v_fma_f64 v[2:3], v[36:37], s[16:17], v[20:21]
	v_fma_f64 v[4:5], v[40:41], s[18:19], v[28:29]
	s_delay_alu instid0(VALU_DEP_4) | instskip(NEXT) | instid1(VALU_DEP_3)
	v_fma_f64 v[0:1], v[80:81], s[14:15], v[0:1]
	v_fma_f64 v[2:3], v[22:23], s[2:3], v[2:3]
	s_delay_alu instid0(VALU_DEP_3) | instskip(NEXT) | instid1(VALU_DEP_3)
	v_fma_f64 v[4:5], v[30:31], s[14:15], v[4:5]
	v_fma_f64 v[0:1], v[24:25], s[12:13], v[0:1]
	s_delay_alu instid0(VALU_DEP_3) | instskip(NEXT) | instid1(VALU_DEP_3)
	v_fma_f64 v[2:3], v[10:11], s[12:13], v[2:3]
	v_fma_f64 v[4:5], v[12:13], s[12:13], v[4:5]
	s_delay_alu instid0(VALU_DEP_3) | instskip(SKIP_1) | instid1(VALU_DEP_2)
	v_mul_f64_e32 v[8:9], s[14:15], v[0:1]
	v_mul_f64_e32 v[0:1], s[24:25], v[0:1]
	v_fma_f64 v[8:9], v[6:7], s[24:25], v[8:9]
	s_delay_alu instid0(VALU_DEP_2) | instskip(NEXT) | instid1(VALU_DEP_2)
	v_fma_f64 v[0:1], v[6:7], s[2:3], v[0:1]
	v_add_f64_e32 v[40:41], v[2:3], v[8:9]
	s_delay_alu instid0(VALU_DEP_2)
	v_add_f64_e32 v[42:43], v[4:5], v[0:1]
	v_add_f64_e64 v[48:49], v[2:3], -v[8:9]
	v_add_f64_e64 v[50:51], v[4:5], -v[0:1]
	ds_load_b128 v[84:87], v253 offset:2048
	ds_load_b128 v[80:83], v253 offset:8192
	;; [unrolled: 1-line block ×20, first 2 shown]
	global_wb scope:SCOPE_SE
	s_wait_dscnt 0x0
	s_barrier_signal -1
	s_barrier_wait -1
	global_inv scope:SCOPE_SE
	ds_store_b128 v254, v[64:67]
	ds_store_b128 v254, v[116:119] offset:80
	ds_store_b128 v254, v[68:71] offset:16
	;; [unrolled: 1-line block ×9, first 2 shown]
	v_add_f64_e32 v[42:43], v[86:87], v[106:107]
	v_add_f64_e32 v[40:41], v[84:85], v[104:105]
	v_add_f64_e64 v[72:73], v[106:107], -v[2:3]
	v_add_f64_e32 v[58:59], v[106:107], v[2:3]
	v_add_f64_e64 v[64:65], v[2:3], -v[110:111]
	v_add_f64_e64 v[66:67], v[110:111], -v[2:3]
	v_add_f64_e32 v[44:45], v[112:113], v[108:109]
	v_add_f64_e64 v[46:47], v[104:105], -v[112:113]
	v_add_f64_e64 v[52:53], v[112:113], -v[104:105]
	;; [unrolled: 1-line block ×4, first 2 shown]
	v_add_f64_e32 v[48:49], v[114:115], v[110:111]
	v_add_f64_e32 v[56:57], v[104:105], v[0:1]
	v_add_f64_e64 v[74:75], v[104:105], -v[0:1]
	v_add_f64_e64 v[60:61], v[0:1], -v[108:109]
	;; [unrolled: 1-line block ×3, first 2 shown]
	v_add_f64_e32 v[104:105], v[96:97], v[92:93]
	v_add_f64_e32 v[118:119], v[88:89], v[100:101]
	v_add_f64_e64 v[50:51], v[106:107], -v[114:115]
	v_add_f64_e64 v[54:55], v[114:115], -v[106:107]
	;; [unrolled: 1-line block ×6, first 2 shown]
	v_add_f64_e32 v[42:43], v[42:43], v[114:115]
	v_add_f64_e32 v[40:41], v[40:41], v[112:113]
	;; [unrolled: 1-line block ×3, first 2 shown]
	v_add_f64_e64 v[114:115], v[90:91], -v[98:99]
	v_fma_f64 v[161:162], v[44:45], -0.5, v[84:85]
	v_fma_f64 v[163:164], v[48:49], -0.5, v[86:87]
	;; [unrolled: 1-line block ×5, first 2 shown]
	v_add_f64_e32 v[42:43], v[42:43], v[110:111]
	v_add_f64_e32 v[40:41], v[40:41], v[108:109]
	v_add_f64_e64 v[108:109], v[88:89], -v[96:97]
	v_add_f64_e64 v[110:111], v[96:97], -v[88:89]
	v_fma_f64 v[112:113], v[112:113], -0.5, v[82:83]
	v_add_f64_e32 v[42:43], v[42:43], v[2:3]
	v_add_f64_e32 v[2:3], v[82:83], v[90:91]
	;; [unrolled: 1-line block ×4, first 2 shown]
	v_add_f64_e64 v[88:89], v[88:89], -v[100:101]
	v_fma_f64 v[80:81], v[118:119], -0.5, v[80:81]
	v_add_f64_e32 v[2:3], v[2:3], v[98:99]
	v_add_f64_e64 v[98:99], v[98:99], -v[90:91]
	v_add_f64_e32 v[0:1], v[0:1], v[96:97]
	v_add_f64_e64 v[96:97], v[96:97], -v[92:93]
	v_add_f64_e32 v[90:91], v[90:91], v[102:103]
	v_fma_f64 v[44:45], v[88:89], s[16:17], v[112:113]
	v_add_f64_e32 v[2:3], v[2:3], v[94:95]
	v_add_f64_e64 v[94:95], v[94:95], -v[102:103]
	v_add_f64_e32 v[0:1], v[0:1], v[92:93]
	v_add_f64_e64 v[92:93], v[92:93], -v[100:101]
	v_fma_f64 v[82:83], v[90:91], -0.5, v[82:83]
	v_add_f64_e32 v[90:91], v[46:47], v[60:61]
	v_fma_f64 v[44:45], v[96:97], s[2:3], v[44:45]
	v_fma_f64 v[46:47], v[116:117], s[18:19], v[104:105]
	v_add_f64_e32 v[60:61], v[52:53], v[62:63]
	v_add_f64_e32 v[62:63], v[54:55], v[66:67]
	v_fma_f64 v[54:55], v[106:107], s[16:17], v[80:81]
	v_add_f64_e32 v[102:103], v[2:3], v[102:103]
	v_add_f64_e32 v[66:67], v[98:99], v[94:95]
	;; [unrolled: 1-line block ×3, first 2 shown]
	v_fma_f64 v[52:53], v[96:97], s[18:19], v[82:83]
	v_fma_f64 v[46:47], v[106:107], s[14:15], v[46:47]
	;; [unrolled: 1-line block ×3, first 2 shown]
	v_add_f64_e32 v[2:3], v[42:43], v[102:103]
	v_add_f64_e64 v[42:43], v[42:43], -v[102:103]
	v_add_f64_e32 v[102:103], v[108:109], v[120:121]
	v_add_f64_e32 v[108:109], v[114:115], v[122:123]
	;; [unrolled: 1-line block ×3, first 2 shown]
	v_add_f64_e64 v[40:41], v[40:41], -v[100:101]
	v_add_f64_e32 v[100:101], v[50:51], v[64:65]
	v_fma_f64 v[52:53], v[88:89], s[2:3], v[52:53]
	v_add_f64_e32 v[64:65], v[110:111], v[92:93]
	v_fma_f64 v[46:47], v[102:103], s[12:13], v[46:47]
	v_fma_f64 v[44:45], v[108:109], s[12:13], v[44:45]
	s_delay_alu instid0(VALU_DEP_4) | instskip(NEXT) | instid1(VALU_DEP_4)
	v_fma_f64 v[52:53], v[66:67], s[12:13], v[52:53]
	v_fma_f64 v[54:55], v[64:65], s[12:13], v[54:55]
	s_delay_alu instid0(VALU_DEP_3) | instskip(NEXT) | instid1(VALU_DEP_1)
	v_mul_f64_e32 v[48:49], s[14:15], v[44:45]
	v_fma_f64 v[48:49], v[46:47], s[20:21], v[48:49]
	v_mul_f64_e32 v[46:47], s[2:3], v[46:47]
	s_delay_alu instid0(VALU_DEP_1) | instskip(SKIP_2) | instid1(VALU_DEP_2)
	v_fma_f64 v[50:51], v[44:45], s[20:21], v[46:47]
	v_fma_f64 v[44:45], v[72:73], s[18:19], v[161:162]
	;; [unrolled: 1-line block ×4, first 2 shown]
	s_delay_alu instid0(VALU_DEP_2) | instskip(NEXT) | instid1(VALU_DEP_2)
	v_fma_f64 v[46:47], v[70:71], s[2:3], v[46:47]
	v_fma_f64 v[56:57], v[90:91], s[12:13], v[44:45]
	s_delay_alu instid0(VALU_DEP_2) | instskip(NEXT) | instid1(VALU_DEP_2)
	v_fma_f64 v[58:59], v[100:101], s[12:13], v[46:47]
	v_add_f64_e32 v[44:45], v[56:57], v[48:49]
	v_add_f64_e64 v[48:49], v[56:57], -v[48:49]
	v_mul_f64_e32 v[56:57], s[18:19], v[52:53]
	v_mul_f64_e32 v[52:53], s[12:13], v[52:53]
	v_add_f64_e32 v[46:47], v[58:59], v[50:51]
	v_add_f64_e64 v[50:51], v[58:59], -v[50:51]
	s_delay_alu instid0(VALU_DEP_4) | instskip(NEXT) | instid1(VALU_DEP_4)
	v_fma_f64 v[56:57], v[54:55], s[12:13], v[56:57]
	v_fma_f64 v[58:59], v[54:55], s[16:17], v[52:53]
	;; [unrolled: 1-line block ×5, first 2 shown]
	s_delay_alu instid0(VALU_DEP_3) | instskip(NEXT) | instid1(VALU_DEP_3)
	v_fma_f64 v[52:53], v[72:73], s[14:15], v[52:53]
	v_fma_f64 v[84:85], v[72:73], s[2:3], v[84:85]
	s_delay_alu instid0(VALU_DEP_3) | instskip(SKIP_1) | instid1(VALU_DEP_4)
	v_fma_f64 v[54:55], v[74:75], s[2:3], v[54:55]
	v_fma_f64 v[72:73], v[72:73], s[16:17], v[161:162]
	;; [unrolled: 1-line block ×3, first 2 shown]
	s_delay_alu instid0(VALU_DEP_4)
	v_fma_f64 v[84:85], v[60:61], s[12:13], v[84:85]
	v_fma_f64 v[60:61], v[70:71], s[16:17], v[86:87]
	;; [unrolled: 1-line block ×4, first 2 shown]
	v_add_f64_e32 v[52:53], v[92:93], v[56:57]
	v_add_f64_e64 v[56:57], v[92:93], -v[56:57]
	v_fma_f64 v[60:61], v[74:75], s[14:15], v[60:61]
	v_fma_f64 v[74:75], v[74:75], s[18:19], v[163:164]
	v_add_f64_e32 v[54:55], v[94:95], v[58:59]
	v_add_f64_e64 v[58:59], v[94:95], -v[58:59]
	s_delay_alu instid0(VALU_DEP_4)
	v_fma_f64 v[86:87], v[62:63], s[12:13], v[60:61]
	v_fma_f64 v[60:61], v[96:97], s[16:17], v[82:83]
	;; [unrolled: 1-line block ×16, first 2 shown]
	v_mul_f64_e32 v[64:65], s[18:19], v[60:61]
	v_mul_f64_e32 v[60:61], s[22:23], v[60:61]
	;; [unrolled: 1-line block ×4, first 2 shown]
	s_delay_alu instid0(VALU_DEP_4) | instskip(NEXT) | instid1(VALU_DEP_4)
	v_fma_f64 v[64:65], v[62:63], s[22:23], v[64:65]
	v_fma_f64 v[66:67], v[62:63], s[16:17], v[60:61]
	s_delay_alu instid0(VALU_DEP_4) | instskip(NEXT) | instid1(VALU_DEP_3)
	v_fma_f64 v[74:75], v[68:69], s[24:25], v[70:71]
	v_add_f64_e32 v[60:61], v[84:85], v[64:65]
	v_add_f64_e64 v[64:65], v[84:85], -v[64:65]
	v_fma_f64 v[84:85], v[68:69], s[2:3], v[72:73]
	s_delay_alu instid0(VALU_DEP_4)
	v_add_f64_e32 v[68:69], v[80:81], v[74:75]
	v_add_f64_e64 v[72:73], v[80:81], -v[74:75]
	scratch_load_b32 v80, off, off offset:492 th:TH_LOAD_LU ; 4-byte Folded Reload
	v_add_f64_e32 v[62:63], v[86:87], v[66:67]
	v_add_f64_e64 v[66:67], v[86:87], -v[66:67]
	v_add_f64_e32 v[70:71], v[82:83], v[84:85]
	v_add_f64_e64 v[74:75], v[82:83], -v[84:85]
	s_wait_loadcnt 0x0
	ds_store_b128 v80, v[0:3]
	ds_store_b128 v80, v[44:47] offset:16
	ds_store_b128 v80, v[52:55] offset:32
	;; [unrolled: 1-line block ×9, first 2 shown]
	v_add_f64_e32 v[0:1], v[32:33], v[16:17]
	v_add_f64_e32 v[2:3], v[34:35], v[18:19]
	;; [unrolled: 1-line block ×4, first 2 shown]
	v_add_f64_e64 v[42:43], v[10:11], -v[14:15]
	v_add_f64_e64 v[44:45], v[16:17], -v[8:9]
	;; [unrolled: 1-line block ×3, first 2 shown]
	v_add_f64_e32 v[48:49], v[10:11], v[14:15]
	v_add_f64_e64 v[50:51], v[8:9], -v[12:13]
	v_add_f64_e64 v[52:53], v[10:11], -v[18:19]
	;; [unrolled: 1-line block ×8, first 2 shown]
	v_add_f64_e32 v[74:75], v[28:29], v[76:77]
	v_add_f64_e64 v[80:81], v[28:29], -v[76:77]
	v_add_f64_e64 v[70:71], v[20:21], -v[24:25]
	;; [unrolled: 1-line block ×5, first 2 shown]
	v_add_f64_e32 v[0:1], v[0:1], v[8:9]
	v_add_f64_e32 v[2:3], v[2:3], v[10:11]
	v_add_f64_e64 v[8:9], v[18:19], -v[10:11]
	v_add_f64_e32 v[10:11], v[16:17], v[4:5]
	v_add_f64_e32 v[16:17], v[18:19], v[6:7]
	v_add_f64_e64 v[18:19], v[4:5], -v[12:13]
	v_fma_f64 v[68:69], v[68:69], -0.5, v[38:39]
	v_fma_f64 v[40:41], v[40:41], -0.5, v[32:33]
	;; [unrolled: 1-line block ×3, first 2 shown]
	v_add_f64_e32 v[0:1], v[0:1], v[12:13]
	v_add_f64_e32 v[2:3], v[2:3], v[14:15]
	v_add_f64_e64 v[12:13], v[6:7], -v[14:15]
	v_add_f64_e32 v[14:15], v[20:21], v[24:25]
	v_fma_f64 v[32:33], v[10:11], -0.5, v[32:33]
	v_fma_f64 v[34:35], v[16:17], -0.5, v[34:35]
	v_add_f64_e32 v[4:5], v[0:1], v[4:5]
	v_add_f64_e32 v[0:1], v[36:37], v[28:29]
	;; [unrolled: 1-line block ×5, first 2 shown]
	v_fma_f64 v[84:85], v[14:15], -0.5, v[36:37]
	v_fma_f64 v[36:37], v[74:75], -0.5, v[36:37]
	v_add_f64_e32 v[0:1], v[0:1], v[20:21]
	v_add_f64_e64 v[20:21], v[30:31], -v[22:23]
	v_fma_f64 v[28:29], v[28:29], -0.5, v[38:39]
	v_add_f64_e32 v[38:39], v[44:45], v[18:19]
	v_add_f64_e32 v[44:45], v[8:9], v[12:13]
	v_fma_f64 v[8:9], v[80:81], s[16:17], v[68:69]
	v_add_f64_e32 v[2:3], v[2:3], v[22:23]
	v_add_f64_e64 v[22:23], v[22:23], -v[30:31]
	v_add_f64_e64 v[30:31], v[76:77], -v[24:25]
	v_fma_f64 v[10:11], v[72:73], s[18:19], v[84:85]
	v_add_f64_e32 v[0:1], v[0:1], v[24:25]
	v_add_f64_e32 v[74:75], v[20:21], v[82:83]
	v_add_f64_e64 v[24:25], v[24:25], -v[76:77]
	v_fma_f64 v[8:9], v[70:71], s[2:3], v[8:9]
	v_add_f64_e32 v[2:3], v[2:3], v[26:27]
	v_add_f64_e64 v[26:27], v[26:27], -v[78:79]
	v_add_f64_e32 v[64:65], v[64:65], v[30:31]
	v_fma_f64 v[10:11], v[62:63], s[14:15], v[10:11]
	v_add_f64_e32 v[30:31], v[46:47], v[58:59]
	v_add_f64_e32 v[46:47], v[52:53], v[60:61]
	;; [unrolled: 1-line block ×4, first 2 shown]
	v_fma_f64 v[8:9], v[74:75], s[12:13], v[8:9]
	v_add_f64_e32 v[78:79], v[2:3], v[78:79]
	v_add_f64_e32 v[26:27], v[22:23], v[26:27]
	v_fma_f64 v[10:11], v[64:65], s[12:13], v[10:11]
	v_add_f64_e32 v[0:1], v[4:5], v[76:77]
	v_add_f64_e64 v[4:5], v[4:5], -v[76:77]
	v_mul_f64_e32 v[12:13], s[14:15], v[8:9]
	v_add_f64_e32 v[2:3], v[6:7], v[78:79]
	v_add_f64_e64 v[6:7], v[6:7], -v[78:79]
	s_delay_alu instid0(VALU_DEP_3) | instskip(SKIP_1) | instid1(VALU_DEP_1)
	v_fma_f64 v[12:13], v[10:11], s[20:21], v[12:13]
	v_mul_f64_e32 v[10:11], s[2:3], v[10:11]
	v_fma_f64 v[14:15], v[8:9], s[20:21], v[10:11]
	v_fma_f64 v[8:9], v[54:55], s[18:19], v[40:41]
	;; [unrolled: 1-line block ×3, first 2 shown]
	s_delay_alu instid0(VALU_DEP_2) | instskip(NEXT) | instid1(VALU_DEP_2)
	v_fma_f64 v[8:9], v[42:43], s[14:15], v[8:9]
	v_fma_f64 v[10:11], v[50:51], s[2:3], v[10:11]
	s_delay_alu instid0(VALU_DEP_2) | instskip(NEXT) | instid1(VALU_DEP_2)
	v_fma_f64 v[16:17], v[38:39], s[12:13], v[8:9]
	v_fma_f64 v[18:19], v[44:45], s[12:13], v[10:11]
	s_delay_alu instid0(VALU_DEP_2) | instskip(SKIP_2) | instid1(VALU_DEP_4)
	v_add_f64_e32 v[8:9], v[16:17], v[12:13]
	v_add_f64_e64 v[12:13], v[16:17], -v[12:13]
	v_fma_f64 v[16:17], v[70:71], s[18:19], v[28:29]
	v_add_f64_e32 v[10:11], v[18:19], v[14:15]
	v_add_f64_e64 v[14:15], v[18:19], -v[14:15]
	v_fma_f64 v[18:19], v[62:63], s[16:17], v[36:37]
	v_fma_f64 v[28:29], v[70:71], s[16:17], v[28:29]
	;; [unrolled: 1-line block ×3, first 2 shown]
	s_delay_alu instid0(VALU_DEP_3) | instskip(NEXT) | instid1(VALU_DEP_3)
	v_fma_f64 v[18:19], v[72:73], s[14:15], v[18:19]
	v_fma_f64 v[28:29], v[80:81], s[14:15], v[28:29]
	s_delay_alu instid0(VALU_DEP_3) | instskip(NEXT) | instid1(VALU_DEP_3)
	v_fma_f64 v[16:17], v[26:27], s[12:13], v[16:17]
	v_fma_f64 v[18:19], v[24:25], s[12:13], v[18:19]
	s_delay_alu instid0(VALU_DEP_3) | instskip(SKIP_4) | instid1(VALU_DEP_4)
	v_fma_f64 v[26:27], v[26:27], s[12:13], v[28:29]
	v_fma_f64 v[28:29], v[62:63], s[18:19], v[36:37]
	;; [unrolled: 1-line block ×3, first 2 shown]
	v_mul_f64_e32 v[20:21], s[18:19], v[16:17]
	v_mul_f64_e32 v[16:17], s[12:13], v[16:17]
	v_fma_f64 v[28:29], v[72:73], s[2:3], v[28:29]
	s_delay_alu instid0(VALU_DEP_4) | instskip(NEXT) | instid1(VALU_DEP_4)
	v_fma_f64 v[36:37], v[50:51], s[14:15], v[36:37]
	v_fma_f64 v[20:21], v[18:19], s[12:13], v[20:21]
	s_delay_alu instid0(VALU_DEP_4)
	v_fma_f64 v[22:23], v[18:19], s[16:17], v[16:17]
	v_fma_f64 v[16:17], v[42:43], s[16:17], v[32:33]
	;; [unrolled: 1-line block ×5, first 2 shown]
	v_mul_f64_e32 v[28:29], s[18:19], v[26:27]
	v_mul_f64_e32 v[26:27], s[22:23], v[26:27]
	v_fma_f64 v[16:17], v[54:55], s[14:15], v[16:17]
	v_fma_f64 v[32:33], v[54:55], s[2:3], v[32:33]
	v_fma_f64 v[18:19], v[56:57], s[2:3], v[18:19]
	v_fma_f64 v[28:29], v[24:25], s[22:23], v[28:29]
	s_delay_alu instid0(VALU_DEP_4) | instskip(NEXT) | instid1(VALU_DEP_4)
	v_fma_f64 v[52:53], v[30:31], s[12:13], v[16:17]
	v_fma_f64 v[30:31], v[30:31], s[12:13], v[32:33]
	;; [unrolled: 1-line block ×5, first 2 shown]
	v_add_f64_e32 v[16:17], v[52:53], v[20:21]
	v_add_f64_e32 v[24:25], v[30:31], v[28:29]
	v_fma_f64 v[32:33], v[56:57], s[14:15], v[32:33]
	v_add_f64_e64 v[28:29], v[30:31], -v[28:29]
	v_add_f64_e32 v[18:19], v[58:59], v[22:23]
	v_add_f64_e64 v[20:21], v[52:53], -v[20:21]
	v_add_f64_e64 v[22:23], v[58:59], -v[22:23]
	v_fma_f64 v[32:33], v[46:47], s[12:13], v[32:33]
	s_delay_alu instid0(VALU_DEP_1) | instskip(SKIP_4) | instid1(VALU_DEP_3)
	v_add_f64_e32 v[26:27], v[32:33], v[34:35]
	v_add_f64_e64 v[30:31], v[32:33], -v[34:35]
	v_fma_f64 v[32:33], v[80:81], s[18:19], v[68:69]
	v_fma_f64 v[34:35], v[54:55], s[16:17], v[40:41]
	;; [unrolled: 1-line block ×4, first 2 shown]
	s_delay_alu instid0(VALU_DEP_3) | instskip(NEXT) | instid1(VALU_DEP_3)
	v_fma_f64 v[34:35], v[42:43], s[2:3], v[34:35]
	v_fma_f64 v[40:41], v[62:63], s[2:3], v[40:41]
	;; [unrolled: 1-line block ×3, first 2 shown]
	s_delay_alu instid0(VALU_DEP_4) | instskip(NEXT) | instid1(VALU_DEP_4)
	v_fma_f64 v[32:33], v[74:75], s[12:13], v[32:33]
	v_fma_f64 v[38:39], v[38:39], s[12:13], v[34:35]
	s_delay_alu instid0(VALU_DEP_4) | instskip(NEXT) | instid1(VALU_DEP_3)
	v_fma_f64 v[34:35], v[64:65], s[12:13], v[40:41]
	v_mul_f64_e32 v[36:37], s[14:15], v[32:33]
	v_mul_f64_e32 v[32:33], s[24:25], v[32:33]
	s_delay_alu instid0(VALU_DEP_2) | instskip(NEXT) | instid1(VALU_DEP_2)
	v_fma_f64 v[36:37], v[34:35], s[24:25], v[36:37]
	v_fma_f64 v[40:41], v[34:35], s[2:3], v[32:33]
	s_mov_b32 s2, 0x11111111
	s_mov_b32 s3, 0x3f311111
	s_delay_alu instid0(VALU_DEP_2) | instskip(NEXT) | instid1(VALU_DEP_2)
	v_add_f64_e32 v[32:33], v[38:39], v[36:37]
	v_add_f64_e32 v[34:35], v[42:43], v[40:41]
	v_add_f64_e64 v[36:37], v[38:39], -v[36:37]
	v_add_f64_e64 v[38:39], v[42:43], -v[40:41]
	scratch_load_b32 v40, off, off offset:488 th:TH_LOAD_LU ; 4-byte Folded Reload
	s_wait_loadcnt 0x0
	ds_store_b128 v40, v[0:3]
	ds_store_b128 v40, v[8:11] offset:16
	ds_store_b128 v40, v[16:19] offset:32
	;; [unrolled: 1-line block ×9, first 2 shown]
	global_wb scope:SCOPE_SE
	s_wait_dscnt 0x0
	s_barrier_signal -1
	s_barrier_wait -1
	global_inv scope:SCOPE_SE
	s_clause 0x2
	scratch_load_b128 v[6:9], off, off offset:496 th:TH_LOAD_LU
	scratch_load_b128 v[14:17], off, off offset:512 th:TH_LOAD_LU
	;; [unrolled: 1-line block ×3, first 2 shown]
	ds_load_b128 v[0:3], v253 offset:10240
	s_wait_loadcnt_dscnt 0x200
	v_mul_f64_e32 v[4:5], v[8:9], v[2:3]
	s_delay_alu instid0(VALU_DEP_1) | instskip(SKIP_1) | instid1(VALU_DEP_1)
	v_fma_f64 v[4:5], v[6:7], v[0:1], v[4:5]
	v_mul_f64_e32 v[0:1], v[8:9], v[0:1]
	v_fma_f64 v[6:7], v[6:7], v[2:3], -v[0:1]
	ds_load_b128 v[0:3], v253 offset:20480
	s_wait_loadcnt_dscnt 0x100
	v_mul_f64_e32 v[8:9], v[16:17], v[2:3]
	s_delay_alu instid0(VALU_DEP_1) | instskip(SKIP_1) | instid1(VALU_DEP_1)
	v_fma_f64 v[12:13], v[14:15], v[0:1], v[8:9]
	v_mul_f64_e32 v[0:1], v[16:17], v[0:1]
	v_fma_f64 v[14:15], v[14:15], v[2:3], -v[0:1]
	ds_load_b128 v[0:3], v253 offset:30720
	s_wait_loadcnt_dscnt 0x0
	v_mul_f64_e32 v[8:9], v[20:21], v[2:3]
	s_delay_alu instid0(VALU_DEP_1)
	v_fma_f64 v[16:17], v[18:19], v[0:1], v[8:9]
	v_mul_f64_e32 v[0:1], v[20:21], v[0:1]
	scratch_load_b128 v[20:23], off, off offset:544 th:TH_LOAD_LU ; 16-byte Folded Reload
	v_fma_f64 v[18:19], v[18:19], v[2:3], -v[0:1]
	ds_load_b128 v[0:3], v253 offset:40960
	v_add_f64_e32 v[10:11], v[6:7], v[18:19]
	s_wait_loadcnt_dscnt 0x0
	v_mul_f64_e32 v[8:9], v[22:23], v[2:3]
	s_delay_alu instid0(VALU_DEP_1) | instskip(SKIP_1) | instid1(VALU_DEP_1)
	v_fma_f64 v[24:25], v[20:21], v[0:1], v[8:9]
	v_mul_f64_e32 v[0:1], v[22:23], v[0:1]
	v_fma_f64 v[26:27], v[20:21], v[2:3], -v[0:1]
	scratch_load_b128 v[20:23], off, off offset:560 th:TH_LOAD_LU ; 16-byte Folded Reload
	ds_load_b128 v[0:3], v253 offset:51200
	s_wait_loadcnt_dscnt 0x0
	v_mul_f64_e32 v[8:9], v[22:23], v[2:3]
	s_delay_alu instid0(VALU_DEP_1) | instskip(SKIP_1) | instid1(VALU_DEP_1)
	v_fma_f64 v[28:29], v[20:21], v[0:1], v[8:9]
	v_mul_f64_e32 v[0:1], v[22:23], v[0:1]
	v_fma_f64 v[30:31], v[20:21], v[2:3], -v[0:1]
	scratch_load_b128 v[20:23], off, off offset:576 th:TH_LOAD_LU ; 16-byte Folded Reload
	ds_load_b128 v[0:3], v253 offset:12288
	v_add_f64_e32 v[10:11], v[10:11], v[30:31]
	s_wait_loadcnt_dscnt 0x0
	v_mul_f64_e32 v[8:9], v[22:23], v[2:3]
	s_delay_alu instid0(VALU_DEP_1) | instskip(SKIP_1) | instid1(VALU_DEP_1)
	v_fma_f64 v[100:101], v[20:21], v[0:1], v[8:9]
	v_mul_f64_e32 v[0:1], v[22:23], v[0:1]
	v_fma_f64 v[102:103], v[20:21], v[2:3], -v[0:1]
	scratch_load_b128 v[20:23], off, off offset:592 th:TH_LOAD_LU ; 16-byte Folded Reload
	ds_load_b128 v[0:3], v253 offset:22528
	s_wait_loadcnt_dscnt 0x0
	v_mul_f64_e32 v[8:9], v[22:23], v[2:3]
	s_delay_alu instid0(VALU_DEP_1) | instskip(SKIP_1) | instid1(VALU_DEP_1)
	v_fma_f64 v[104:105], v[20:21], v[0:1], v[8:9]
	v_mul_f64_e32 v[0:1], v[22:23], v[0:1]
	v_fma_f64 v[106:107], v[20:21], v[2:3], -v[0:1]
	scratch_load_b128 v[20:23], off, off offset:608 th:TH_LOAD_LU ; 16-byte Folded Reload
	ds_load_b128 v[0:3], v253 offset:32768
	;; [unrolled: 8-line block ×19, first 2 shown]
	s_wait_loadcnt_dscnt 0x0
	v_mul_f64_e32 v[8:9], v[22:23], v[2:3]
	s_delay_alu instid0(VALU_DEP_1) | instskip(SKIP_2) | instid1(VALU_DEP_2)
	v_fma_f64 v[58:59], v[20:21], v[0:1], v[8:9]
	v_mul_f64_e32 v[0:1], v[22:23], v[0:1]
	v_add_f64_e32 v[8:9], v[12:13], v[24:25]
	v_fma_f64 v[56:57], v[20:21], v[2:3], -v[0:1]
	ds_load_b128 v[0:3], v253
	s_wait_dscnt 0x0
	v_fma_f64 v[32:33], v[8:9], -0.5, v[0:1]
	v_add_f64_e32 v[8:9], v[14:15], v[26:27]
	v_add_f64_e32 v[0:1], v[0:1], v[12:13]
	s_delay_alu instid0(VALU_DEP_2) | instskip(SKIP_2) | instid1(VALU_DEP_4)
	v_fma_f64 v[34:35], v[8:9], -0.5, v[2:3]
	v_add_f64_e32 v[2:3], v[2:3], v[14:15]
	v_add_f64_e32 v[8:9], v[4:5], v[16:17]
	;; [unrolled: 1-line block ×3, first 2 shown]
	s_delay_alu instid0(VALU_DEP_3) | instskip(NEXT) | instid1(VALU_DEP_3)
	v_add_f64_e32 v[2:3], v[2:3], v[26:27]
	v_add_f64_e32 v[8:9], v[8:9], v[28:29]
	s_delay_alu instid0(VALU_DEP_2) | instskip(NEXT) | instid1(VALU_DEP_2)
	v_add_f64_e32 v[22:23], v[2:3], v[10:11]
	v_add_f64_e32 v[20:21], v[0:1], v[8:9]
	v_add_f64_e64 v[8:9], v[0:1], -v[8:9]
	v_add_f64_e64 v[10:11], v[2:3], -v[10:11]
	v_add_f64_e32 v[0:1], v[16:17], v[28:29]
	v_add_f64_e64 v[2:3], v[16:17], -v[28:29]
	v_add_f64_e32 v[16:17], v[18:19], v[30:31]
	v_add_f64_e64 v[18:19], v[18:19], -v[30:31]
	v_add_f64_e64 v[28:29], v[12:13], -v[24:25]
	v_fma_f64 v[0:1], v[0:1], -0.5, v[4:5]
	s_delay_alu instid0(VALU_DEP_4) | instskip(SKIP_1) | instid1(VALU_DEP_4)
	v_fma_f64 v[6:7], v[16:17], -0.5, v[6:7]
	v_add_f64_e64 v[16:17], v[14:15], -v[26:27]
	v_fma_f64 v[30:31], v[28:29], s[26:27], v[34:35]
	s_delay_alu instid0(VALU_DEP_4) | instskip(SKIP_4) | instid1(VALU_DEP_3)
	v_fma_f64 v[14:15], v[18:19], s[28:29], v[0:1]
	v_fma_f64 v[0:1], v[18:19], s[26:27], v[0:1]
	;; [unrolled: 1-line block ×5, first 2 shown]
	v_mul_f64_e32 v[12:13], s[28:29], v[4:5]
	v_mul_f64_e32 v[4:5], 0.5, v[4:5]
	s_delay_alu instid0(VALU_DEP_2) | instskip(NEXT) | instid1(VALU_DEP_2)
	v_fma_f64 v[12:13], v[14:15], 0.5, v[12:13]
	v_fma_f64 v[4:5], v[14:15], s[26:27], v[4:5]
	v_fma_f64 v[14:15], v[16:17], s[28:29], v[32:33]
	s_delay_alu instid0(VALU_DEP_2) | instskip(NEXT) | instid1(VALU_DEP_2)
	v_add_f64_e32 v[26:27], v[30:31], v[4:5]
	v_add_f64_e32 v[24:25], v[14:15], v[12:13]
	v_add_f64_e64 v[12:13], v[14:15], -v[12:13]
	v_add_f64_e64 v[14:15], v[30:31], -v[4:5]
	v_fma_f64 v[4:5], v[16:17], s[26:27], v[32:33]
	v_mul_f64_e32 v[16:17], s[28:29], v[2:3]
	v_mul_f64_e32 v[2:3], -0.5, v[2:3]
	s_delay_alu instid0(VALU_DEP_2) | instskip(NEXT) | instid1(VALU_DEP_2)
	v_fma_f64 v[16:17], v[0:1], -0.5, v[16:17]
	v_fma_f64 v[0:1], v[0:1], s[26:27], v[2:3]
	s_delay_alu instid0(VALU_DEP_2) | instskip(NEXT) | instid1(VALU_DEP_2)
	v_add_f64_e32 v[32:33], v[4:5], v[16:17]
	v_add_f64_e32 v[34:35], v[6:7], v[0:1]
	v_add_f64_e64 v[28:29], v[4:5], -v[16:17]
	v_add_f64_e64 v[30:31], v[6:7], -v[0:1]
	ds_load_b128 v[16:19], v253 offset:2048
	ds_load_b128 v[4:7], v253 offset:4096
	;; [unrolled: 1-line block ×4, first 2 shown]
	global_wb scope:SCOPE_SE
	s_wait_dscnt 0x0
	s_barrier_signal -1
	s_barrier_wait -1
	global_inv scope:SCOPE_SE
	scratch_load_b32 v120, off, off offset:1040 th:TH_LOAD_LU ; 4-byte Folded Reload
	s_wait_loadcnt 0x0
	ds_store_b128 v120, v[20:23]
	ds_store_b128 v120, v[8:11] offset:480
	ds_store_b128 v120, v[24:27] offset:160
	;; [unrolled: 1-line block ×5, first 2 shown]
	v_add_f64_e32 v[8:9], v[104:105], v[112:113]
	v_add_f64_e32 v[10:11], v[18:19], v[106:107]
	v_add_f64_e64 v[28:29], v[110:111], -v[118:119]
	v_add_f64_e64 v[32:33], v[106:107], -v[114:115]
	;; [unrolled: 1-line block ×3, first 2 shown]
	v_fma_f64 v[24:25], v[8:9], -0.5, v[16:17]
	v_add_f64_e32 v[8:9], v[106:107], v[114:115]
	v_add_f64_e32 v[14:15], v[10:11], v[114:115]
	s_delay_alu instid0(VALU_DEP_2) | instskip(SKIP_1) | instid1(VALU_DEP_2)
	v_fma_f64 v[26:27], v[8:9], -0.5, v[18:19]
	v_add_f64_e32 v[8:9], v[16:17], v[104:105]
	v_fma_f64 v[106:107], v[34:35], s[26:27], v[26:27]
	s_delay_alu instid0(VALU_DEP_2) | instskip(SKIP_1) | instid1(VALU_DEP_1)
	v_add_f64_e32 v[12:13], v[8:9], v[112:113]
	v_add_f64_e32 v[8:9], v[100:101], v[110:111]
	v_add_f64_e32 v[16:17], v[8:9], v[118:119]
	v_add_f64_e32 v[8:9], v[102:103], v[108:109]
	s_delay_alu instid0(VALU_DEP_1) | instskip(NEXT) | instid1(VALU_DEP_3)
	v_add_f64_e32 v[18:19], v[8:9], v[116:117]
	v_add_f64_e32 v[8:9], v[12:13], v[16:17]
	v_add_f64_e64 v[12:13], v[12:13], -v[16:17]
	v_add_f64_e32 v[16:17], v[110:111], v[118:119]
	s_delay_alu instid0(VALU_DEP_4) | instskip(SKIP_2) | instid1(VALU_DEP_4)
	v_add_f64_e32 v[10:11], v[14:15], v[18:19]
	v_add_f64_e64 v[14:15], v[14:15], -v[18:19]
	v_add_f64_e32 v[18:19], v[108:109], v[116:117]
	v_fma_f64 v[100:101], v[16:17], -0.5, v[100:101]
	s_delay_alu instid0(VALU_DEP_2) | instskip(SKIP_1) | instid1(VALU_DEP_2)
	v_fma_f64 v[30:31], v[18:19], -0.5, v[102:103]
	v_add_f64_e64 v[102:103], v[108:109], -v[116:117]
	v_fma_f64 v[16:17], v[28:29], s[26:27], v[30:31]
	s_delay_alu instid0(VALU_DEP_2) | instskip(SKIP_2) | instid1(VALU_DEP_4)
	v_fma_f64 v[20:21], v[102:103], s[28:29], v[100:101]
	v_fma_f64 v[28:29], v[28:29], s[28:29], v[30:31]
	v_fma_f64 v[30:31], v[32:33], s[26:27], v[24:25]
	v_mul_f64_e32 v[18:19], s[28:29], v[16:17]
	v_mul_f64_e32 v[16:17], 0.5, v[16:17]
	s_delay_alu instid0(VALU_DEP_2) | instskip(NEXT) | instid1(VALU_DEP_2)
	v_fma_f64 v[22:23], v[20:21], 0.5, v[18:19]
	v_fma_f64 v[104:105], v[20:21], s[26:27], v[16:17]
	v_fma_f64 v[20:21], v[32:33], s[28:29], v[24:25]
	;; [unrolled: 1-line block ×4, first 2 shown]
	v_mul_f64_e32 v[26:27], s[28:29], v[28:29]
	v_mul_f64_e32 v[28:29], -0.5, v[28:29]
	v_add_f64_e32 v[18:19], v[106:107], v[104:105]
	v_add_f64_e32 v[16:17], v[20:21], v[22:23]
	v_add_f64_e64 v[20:21], v[20:21], -v[22:23]
	v_add_f64_e64 v[22:23], v[106:107], -v[104:105]
	v_fma_f64 v[34:35], v[24:25], -0.5, v[26:27]
	v_fma_f64 v[100:101], v[24:25], s[26:27], v[28:29]
	s_delay_alu instid0(VALU_DEP_2) | instskip(NEXT) | instid1(VALU_DEP_2)
	v_add_f64_e32 v[24:25], v[30:31], v[34:35]
	v_add_f64_e32 v[26:27], v[32:33], v[100:101]
	v_add_f64_e64 v[28:29], v[30:31], -v[34:35]
	v_add_f64_e64 v[30:31], v[32:33], -v[100:101]
	scratch_load_b32 v32, off, off offset:908 th:TH_LOAD_LU ; 4-byte Folded Reload
	s_wait_loadcnt 0x0
	ds_store_b128 v32, v[8:11]
	ds_store_b128 v32, v[16:19] offset:160
	ds_store_b128 v32, v[24:27] offset:320
	;; [unrolled: 1-line block ×5, first 2 shown]
	v_add_f64_e32 v[8:9], v[84:85], v[92:93]
	v_add_f64_e64 v[24:25], v[90:91], -v[98:99]
	v_add_f64_e64 v[32:33], v[88:89], -v[96:97]
	;; [unrolled: 1-line block ×4, first 2 shown]
	v_fma_f64 v[20:21], v[8:9], -0.5, v[4:5]
	v_add_f64_e32 v[8:9], v[86:87], v[94:95]
	v_add_f64_e32 v[4:5], v[4:5], v[84:85]
	s_delay_alu instid0(VALU_DEP_2) | instskip(NEXT) | instid1(VALU_DEP_2)
	v_fma_f64 v[22:23], v[8:9], -0.5, v[6:7]
	v_add_f64_e32 v[8:9], v[4:5], v[92:93]
	v_add_f64_e32 v[4:5], v[80:81], v[90:91]
	;; [unrolled: 1-line block ×3, first 2 shown]
	s_delay_alu instid0(VALU_DEP_2) | instskip(SKIP_1) | instid1(VALU_DEP_3)
	v_add_f64_e32 v[12:13], v[4:5], v[98:99]
	v_add_f64_e32 v[4:5], v[82:83], v[88:89]
	;; [unrolled: 1-line block ×3, first 2 shown]
	s_delay_alu instid0(VALU_DEP_2) | instskip(NEXT) | instid1(VALU_DEP_4)
	v_add_f64_e32 v[14:15], v[4:5], v[96:97]
	v_add_f64_e32 v[4:5], v[8:9], v[12:13]
	v_add_f64_e64 v[8:9], v[8:9], -v[12:13]
	v_add_f64_e32 v[12:13], v[90:91], v[98:99]
	s_delay_alu instid0(VALU_DEP_4) | instskip(SKIP_2) | instid1(VALU_DEP_4)
	v_add_f64_e32 v[6:7], v[10:11], v[14:15]
	v_add_f64_e64 v[10:11], v[10:11], -v[14:15]
	v_add_f64_e32 v[14:15], v[88:89], v[96:97]
	v_fma_f64 v[34:35], v[12:13], -0.5, v[80:81]
	s_delay_alu instid0(VALU_DEP_2) | instskip(NEXT) | instid1(VALU_DEP_2)
	v_fma_f64 v[26:27], v[14:15], -0.5, v[82:83]
	v_fma_f64 v[16:17], v[32:33], s[28:29], v[34:35]
	v_fma_f64 v[82:83], v[30:31], s[26:27], v[22:23]
	s_delay_alu instid0(VALU_DEP_3) | instskip(SKIP_2) | instid1(VALU_DEP_3)
	v_fma_f64 v[12:13], v[24:25], s[26:27], v[26:27]
	v_fma_f64 v[24:25], v[24:25], s[28:29], v[26:27]
	;; [unrolled: 1-line block ×3, first 2 shown]
	v_mul_f64_e32 v[14:15], s[28:29], v[12:13]
	v_mul_f64_e32 v[12:13], 0.5, v[12:13]
	s_delay_alu instid0(VALU_DEP_2) | instskip(NEXT) | instid1(VALU_DEP_2)
	v_fma_f64 v[18:19], v[16:17], 0.5, v[14:15]
	v_fma_f64 v[80:81], v[16:17], s[26:27], v[12:13]
	v_fma_f64 v[16:17], v[28:29], s[28:29], v[20:21]
	;; [unrolled: 1-line block ×4, first 2 shown]
	v_mul_f64_e32 v[22:23], s[28:29], v[24:25]
	v_mul_f64_e32 v[24:25], -0.5, v[24:25]
	v_add_f64_e32 v[14:15], v[82:83], v[80:81]
	v_add_f64_e32 v[12:13], v[16:17], v[18:19]
	v_add_f64_e64 v[16:17], v[16:17], -v[18:19]
	v_add_f64_e64 v[18:19], v[82:83], -v[80:81]
	v_fma_f64 v[30:31], v[20:21], -0.5, v[22:23]
	v_fma_f64 v[32:33], v[20:21], s[26:27], v[24:25]
	s_delay_alu instid0(VALU_DEP_2) | instskip(NEXT) | instid1(VALU_DEP_2)
	v_add_f64_e32 v[20:21], v[26:27], v[30:31]
	v_add_f64_e32 v[22:23], v[28:29], v[32:33]
	v_add_f64_e64 v[24:25], v[26:27], -v[30:31]
	v_add_f64_e64 v[26:27], v[28:29], -v[32:33]
	scratch_load_b32 v28, off, off offset:904 th:TH_LOAD_LU ; 4-byte Folded Reload
	s_wait_loadcnt 0x0
	ds_store_b128 v28, v[4:7]
	ds_store_b128 v28, v[12:15] offset:160
	ds_store_b128 v28, v[20:23] offset:320
	;; [unrolled: 1-line block ×5, first 2 shown]
	v_add_f64_e32 v[4:5], v[64:65], v[72:73]
	v_add_f64_e64 v[20:21], v[70:71], -v[78:79]
	v_add_f64_e64 v[28:29], v[68:69], -v[76:77]
	;; [unrolled: 1-line block ×4, first 2 shown]
	v_fma_f64 v[16:17], v[4:5], -0.5, v[0:1]
	v_add_f64_e32 v[4:5], v[66:67], v[74:75]
	v_add_f64_e32 v[0:1], v[0:1], v[64:65]
	s_delay_alu instid0(VALU_DEP_2) | instskip(NEXT) | instid1(VALU_DEP_2)
	v_fma_f64 v[18:19], v[4:5], -0.5, v[2:3]
	v_add_f64_e32 v[4:5], v[0:1], v[72:73]
	v_add_f64_e32 v[0:1], v[60:61], v[70:71]
	;; [unrolled: 1-line block ×3, first 2 shown]
	s_delay_alu instid0(VALU_DEP_4) | instskip(NEXT) | instid1(VALU_DEP_3)
	v_fma_f64 v[34:35], v[26:27], s[26:27], v[18:19]
	v_add_f64_e32 v[8:9], v[0:1], v[78:79]
	v_add_f64_e32 v[0:1], v[62:63], v[68:69]
	s_delay_alu instid0(VALU_DEP_4) | instskip(NEXT) | instid1(VALU_DEP_2)
	v_add_f64_e32 v[6:7], v[2:3], v[74:75]
	v_add_f64_e32 v[10:11], v[0:1], v[76:77]
	s_delay_alu instid0(VALU_DEP_4) | instskip(SKIP_2) | instid1(VALU_DEP_4)
	v_add_f64_e32 v[0:1], v[4:5], v[8:9]
	v_add_f64_e64 v[4:5], v[4:5], -v[8:9]
	v_add_f64_e32 v[8:9], v[70:71], v[78:79]
	v_add_f64_e32 v[2:3], v[6:7], v[10:11]
	v_add_f64_e64 v[6:7], v[6:7], -v[10:11]
	v_add_f64_e32 v[10:11], v[68:69], v[76:77]
	s_delay_alu instid0(VALU_DEP_4) | instskip(NEXT) | instid1(VALU_DEP_2)
	v_fma_f64 v[30:31], v[8:9], -0.5, v[60:61]
	v_fma_f64 v[22:23], v[10:11], -0.5, v[62:63]
	s_delay_alu instid0(VALU_DEP_2) | instskip(NEXT) | instid1(VALU_DEP_2)
	v_fma_f64 v[12:13], v[28:29], s[28:29], v[30:31]
	v_fma_f64 v[8:9], v[20:21], s[26:27], v[22:23]
	;; [unrolled: 1-line block ×4, first 2 shown]
	s_delay_alu instid0(VALU_DEP_3) | instskip(SKIP_1) | instid1(VALU_DEP_2)
	v_mul_f64_e32 v[10:11], s[28:29], v[8:9]
	v_mul_f64_e32 v[8:9], 0.5, v[8:9]
	v_fma_f64 v[14:15], v[12:13], 0.5, v[10:11]
	s_delay_alu instid0(VALU_DEP_2)
	v_fma_f64 v[32:33], v[12:13], s[26:27], v[8:9]
	v_fma_f64 v[12:13], v[24:25], s[28:29], v[16:17]
	;; [unrolled: 1-line block ×4, first 2 shown]
	v_mul_f64_e32 v[18:19], s[28:29], v[20:21]
	v_mul_f64_e32 v[20:21], -0.5, v[20:21]
	v_add_f64_e32 v[10:11], v[34:35], v[32:33]
	v_add_f64_e32 v[8:9], v[12:13], v[14:15]
	v_add_f64_e64 v[12:13], v[12:13], -v[14:15]
	v_add_f64_e64 v[14:15], v[34:35], -v[32:33]
	v_fma_f64 v[26:27], v[16:17], -0.5, v[18:19]
	v_fma_f64 v[28:29], v[16:17], s[26:27], v[20:21]
	s_delay_alu instid0(VALU_DEP_2) | instskip(NEXT) | instid1(VALU_DEP_2)
	v_add_f64_e32 v[16:17], v[22:23], v[26:27]
	v_add_f64_e32 v[18:19], v[24:25], v[28:29]
	v_add_f64_e64 v[20:21], v[22:23], -v[26:27]
	v_add_f64_e64 v[22:23], v[24:25], -v[28:29]
	scratch_load_b32 v24, off, off offset:900 th:TH_LOAD_LU ; 4-byte Folded Reload
	s_wait_loadcnt 0x0
	ds_store_b128 v24, v[0:3]
	ds_store_b128 v24, v[8:11] offset:160
	ds_store_b128 v24, v[16:19] offset:320
	;; [unrolled: 1-line block ×5, first 2 shown]
	v_add_f64_e32 v[0:1], v[44:45], v[52:53]
	v_add_f64_e32 v[2:3], v[38:39], v[46:47]
	v_add_f64_e64 v[20:21], v[50:51], -v[58:59]
	v_add_f64_e64 v[28:29], v[48:49], -v[56:57]
	v_add_f64_e64 v[24:25], v[46:47], -v[54:55]
	v_add_f64_e64 v[26:27], v[44:45], -v[52:53]
	v_fma_f64 v[16:17], v[0:1], -0.5, v[36:37]
	v_add_f64_e32 v[0:1], v[46:47], v[54:55]
	v_add_f64_e32 v[6:7], v[2:3], v[54:55]
	s_delay_alu instid0(VALU_DEP_2) | instskip(SKIP_1) | instid1(VALU_DEP_2)
	v_fma_f64 v[18:19], v[0:1], -0.5, v[38:39]
	v_add_f64_e32 v[0:1], v[36:37], v[44:45]
	v_fma_f64 v[34:35], v[26:27], s[26:27], v[18:19]
	s_delay_alu instid0(VALU_DEP_2) | instskip(SKIP_1) | instid1(VALU_DEP_1)
	v_add_f64_e32 v[4:5], v[0:1], v[52:53]
	v_add_f64_e32 v[0:1], v[40:41], v[50:51]
	;; [unrolled: 1-line block ×4, first 2 shown]
	s_delay_alu instid0(VALU_DEP_1) | instskip(NEXT) | instid1(VALU_DEP_3)
	v_add_f64_e32 v[10:11], v[0:1], v[56:57]
	v_add_f64_e32 v[0:1], v[4:5], v[8:9]
	v_add_f64_e64 v[4:5], v[4:5], -v[8:9]
	v_add_f64_e32 v[8:9], v[50:51], v[58:59]
	s_delay_alu instid0(VALU_DEP_4) | instskip(SKIP_2) | instid1(VALU_DEP_4)
	v_add_f64_e32 v[2:3], v[6:7], v[10:11]
	v_add_f64_e64 v[6:7], v[6:7], -v[10:11]
	v_add_f64_e32 v[10:11], v[48:49], v[56:57]
	v_fma_f64 v[30:31], v[8:9], -0.5, v[40:41]
	s_delay_alu instid0(VALU_DEP_2) | instskip(NEXT) | instid1(VALU_DEP_2)
	v_fma_f64 v[22:23], v[10:11], -0.5, v[42:43]
	v_fma_f64 v[12:13], v[28:29], s[28:29], v[30:31]
	s_delay_alu instid0(VALU_DEP_2) | instskip(SKIP_2) | instid1(VALU_DEP_3)
	v_fma_f64 v[8:9], v[20:21], s[26:27], v[22:23]
	v_fma_f64 v[20:21], v[20:21], s[28:29], v[22:23]
	;; [unrolled: 1-line block ×3, first 2 shown]
	v_mul_f64_e32 v[10:11], s[28:29], v[8:9]
	v_mul_f64_e32 v[8:9], 0.5, v[8:9]
	s_delay_alu instid0(VALU_DEP_2) | instskip(NEXT) | instid1(VALU_DEP_2)
	v_fma_f64 v[14:15], v[12:13], 0.5, v[10:11]
	v_fma_f64 v[32:33], v[12:13], s[26:27], v[8:9]
	v_fma_f64 v[12:13], v[24:25], s[28:29], v[16:17]
	;; [unrolled: 1-line block ×4, first 2 shown]
	v_mul_f64_e32 v[18:19], s[28:29], v[20:21]
	v_mul_f64_e32 v[20:21], -0.5, v[20:21]
	v_add_f64_e32 v[10:11], v[34:35], v[32:33]
	v_add_f64_e32 v[8:9], v[12:13], v[14:15]
	v_add_f64_e64 v[12:13], v[12:13], -v[14:15]
	v_add_f64_e64 v[14:15], v[34:35], -v[32:33]
	v_fma_f64 v[26:27], v[16:17], -0.5, v[18:19]
	v_fma_f64 v[28:29], v[16:17], s[26:27], v[20:21]
	s_delay_alu instid0(VALU_DEP_2) | instskip(NEXT) | instid1(VALU_DEP_2)
	v_add_f64_e32 v[16:17], v[22:23], v[26:27]
	v_add_f64_e32 v[18:19], v[24:25], v[28:29]
	v_add_f64_e64 v[20:21], v[22:23], -v[26:27]
	v_add_f64_e64 v[22:23], v[24:25], -v[28:29]
	scratch_load_b32 v24, off, off offset:640 th:TH_LOAD_LU ; 4-byte Folded Reload
	s_wait_loadcnt 0x0
	ds_store_b128 v24, v[0:3]
	ds_store_b128 v24, v[8:11] offset:160
	ds_store_b128 v24, v[16:19] offset:320
	;; [unrolled: 1-line block ×5, first 2 shown]
	global_wb scope:SCOPE_SE
	s_wait_dscnt 0x0
	s_barrier_signal -1
	s_barrier_wait -1
	global_inv scope:SCOPE_SE
	s_clause 0x1
	scratch_load_b128 v[6:9], off, off offset:912 th:TH_LOAD_LU
	scratch_load_b128 v[10:13], off, off offset:928 th:TH_LOAD_LU
	ds_load_b128 v[0:3], v253 offset:30720
	s_wait_loadcnt_dscnt 0x100
	v_mul_f64_e32 v[4:5], v[8:9], v[2:3]
	s_delay_alu instid0(VALU_DEP_1) | instskip(SKIP_1) | instid1(VALU_DEP_1)
	v_fma_f64 v[4:5], v[6:7], v[0:1], v[4:5]
	v_mul_f64_e32 v[0:1], v[8:9], v[0:1]
	v_fma_f64 v[6:7], v[6:7], v[2:3], -v[0:1]
	ds_load_b128 v[0:3], v253 offset:32768
	s_wait_loadcnt_dscnt 0x0
	v_mul_f64_e32 v[8:9], v[12:13], v[2:3]
	s_delay_alu instid0(VALU_DEP_1) | instskip(SKIP_1) | instid1(VALU_DEP_1)
	v_fma_f64 v[116:117], v[10:11], v[0:1], v[8:9]
	v_mul_f64_e32 v[0:1], v[12:13], v[0:1]
	v_fma_f64 v[118:119], v[10:11], v[2:3], -v[0:1]
	scratch_load_b128 v[10:13], off, off offset:944 th:TH_LOAD_LU ; 16-byte Folded Reload
	ds_load_b128 v[0:3], v253 offset:34816
	s_wait_loadcnt_dscnt 0x0
	v_mul_f64_e32 v[8:9], v[12:13], v[2:3]
	s_delay_alu instid0(VALU_DEP_1) | instskip(SKIP_1) | instid1(VALU_DEP_1)
	v_fma_f64 v[112:113], v[10:11], v[0:1], v[8:9]
	v_mul_f64_e32 v[0:1], v[12:13], v[0:1]
	v_fma_f64 v[114:115], v[10:11], v[2:3], -v[0:1]
	scratch_load_b128 v[10:13], off, off offset:960 th:TH_LOAD_LU ; 16-byte Folded Reload
	;; [unrolled: 8-line block ×13, first 2 shown]
	ds_load_b128 v[0:3], v253 offset:59392
	s_wait_loadcnt_dscnt 0x0
	v_mul_f64_e32 v[8:9], v[12:13], v[2:3]
	s_delay_alu instid0(VALU_DEP_1) | instskip(SKIP_1) | instid1(VALU_DEP_1)
	v_fma_f64 v[64:65], v[10:11], v[0:1], v[8:9]
	v_mul_f64_e32 v[0:1], v[12:13], v[0:1]
	v_fma_f64 v[66:67], v[10:11], v[2:3], -v[0:1]
	ds_load_b128 v[0:3], v253
	s_wait_dscnt 0x0
	v_add_f64_e64 v[52:53], v[0:1], -v[4:5]
	v_add_f64_e64 v[54:55], v[2:3], -v[6:7]
	s_delay_alu instid0(VALU_DEP_2) | instskip(NEXT) | instid1(VALU_DEP_2)
	v_fma_f64 v[56:57], v[0:1], 2.0, -v[52:53]
	v_fma_f64 v[58:59], v[2:3], 2.0, -v[54:55]
	ds_load_b128 v[48:51], v253 offset:2048
	ds_load_b128 v[44:47], v253 offset:4096
	;; [unrolled: 1-line block ×14, first 2 shown]
	global_wb scope:SCOPE_SE
	s_wait_dscnt 0x0
	s_barrier_signal -1
	s_barrier_wait -1
	global_inv scope:SCOPE_SE
	scratch_load_b32 v120, off, off offset:1212 th:TH_LOAD_LU ; 4-byte Folded Reload
	s_wait_loadcnt 0x0
	ds_store_b128 v120, v[52:55] offset:960
	ds_store_b128 v120, v[56:59]
	scratch_load_b32 v56, off, off offset:1208 th:TH_LOAD_LU ; 4-byte Folded Reload
	v_add_f64_e64 v[52:53], v[48:49], -v[116:117]
	v_add_f64_e64 v[54:55], v[50:51], -v[118:119]
	s_delay_alu instid0(VALU_DEP_2) | instskip(NEXT) | instid1(VALU_DEP_2)
	v_fma_f64 v[48:49], v[48:49], 2.0, -v[52:53]
	v_fma_f64 v[50:51], v[50:51], 2.0, -v[54:55]
	s_wait_loadcnt 0x0
	ds_store_b128 v56, v[48:51]
	ds_store_b128 v56, v[52:55] offset:960
	scratch_load_b32 v52, off, off offset:1204 th:TH_LOAD_LU ; 4-byte Folded Reload
	v_add_f64_e64 v[48:49], v[44:45], -v[112:113]
	v_add_f64_e64 v[50:51], v[46:47], -v[114:115]
	s_delay_alu instid0(VALU_DEP_2) | instskip(NEXT) | instid1(VALU_DEP_2)
	v_fma_f64 v[44:45], v[44:45], 2.0, -v[48:49]
	v_fma_f64 v[46:47], v[46:47], 2.0, -v[50:51]
	s_wait_loadcnt 0x0
	ds_store_b128 v52, v[44:47]
	ds_store_b128 v52, v[48:51] offset:960
	;; [unrolled: 9-line block ×14, first 2 shown]
	global_wb scope:SCOPE_SE
	s_wait_dscnt 0x0
	s_barrier_signal -1
	s_barrier_wait -1
	global_inv scope:SCOPE_SE
	s_clause 0x1
	scratch_load_b128 v[6:9], off, off offset:1216 th:TH_LOAD_LU
	scratch_load_b128 v[10:13], off, off offset:1232 th:TH_LOAD_LU
	ds_load_b128 v[0:3], v253 offset:30720
	s_wait_loadcnt_dscnt 0x100
	v_mul_f64_e32 v[4:5], v[8:9], v[2:3]
	s_delay_alu instid0(VALU_DEP_1) | instskip(SKIP_1) | instid1(VALU_DEP_1)
	v_fma_f64 v[4:5], v[6:7], v[0:1], v[4:5]
	v_mul_f64_e32 v[0:1], v[8:9], v[0:1]
	v_fma_f64 v[6:7], v[6:7], v[2:3], -v[0:1]
	ds_load_b128 v[0:3], v253 offset:32768
	s_wait_loadcnt_dscnt 0x0
	v_mul_f64_e32 v[8:9], v[12:13], v[2:3]
	s_delay_alu instid0(VALU_DEP_1) | instskip(SKIP_1) | instid1(VALU_DEP_1)
	v_fma_f64 v[116:117], v[10:11], v[0:1], v[8:9]
	v_mul_f64_e32 v[0:1], v[12:13], v[0:1]
	v_fma_f64 v[118:119], v[10:11], v[2:3], -v[0:1]
	scratch_load_b128 v[10:13], off, off offset:1248 th:TH_LOAD_LU ; 16-byte Folded Reload
	ds_load_b128 v[0:3], v253 offset:34816
	s_wait_loadcnt_dscnt 0x0
	v_mul_f64_e32 v[8:9], v[12:13], v[2:3]
	s_delay_alu instid0(VALU_DEP_1) | instskip(SKIP_1) | instid1(VALU_DEP_1)
	v_fma_f64 v[112:113], v[10:11], v[0:1], v[8:9]
	v_mul_f64_e32 v[0:1], v[12:13], v[0:1]
	v_fma_f64 v[114:115], v[10:11], v[2:3], -v[0:1]
	scratch_load_b128 v[10:13], off, off offset:1264 th:TH_LOAD_LU ; 16-byte Folded Reload
	;; [unrolled: 8-line block ×13, first 2 shown]
	ds_load_b128 v[0:3], v253 offset:59392
	s_wait_loadcnt_dscnt 0x0
	v_mul_f64_e32 v[8:9], v[12:13], v[2:3]
	s_delay_alu instid0(VALU_DEP_1) | instskip(SKIP_1) | instid1(VALU_DEP_1)
	v_fma_f64 v[64:65], v[10:11], v[0:1], v[8:9]
	v_mul_f64_e32 v[0:1], v[12:13], v[0:1]
	v_fma_f64 v[66:67], v[10:11], v[2:3], -v[0:1]
	ds_load_b128 v[0:3], v253
	s_wait_dscnt 0x0
	v_add_f64_e64 v[52:53], v[0:1], -v[4:5]
	v_add_f64_e64 v[54:55], v[2:3], -v[6:7]
	s_delay_alu instid0(VALU_DEP_2) | instskip(NEXT) | instid1(VALU_DEP_2)
	v_fma_f64 v[56:57], v[0:1], 2.0, -v[52:53]
	v_fma_f64 v[58:59], v[2:3], 2.0, -v[54:55]
	ds_load_b128 v[48:51], v253 offset:2048
	ds_load_b128 v[44:47], v253 offset:4096
	;; [unrolled: 1-line block ×14, first 2 shown]
	global_wb scope:SCOPE_SE
	s_wait_dscnt 0x0
	s_barrier_signal -1
	s_barrier_wait -1
	global_inv scope:SCOPE_SE
	scratch_load_b32 v120, off, off offset:1512 th:TH_LOAD_LU ; 4-byte Folded Reload
	s_wait_loadcnt 0x0
	ds_store_b128 v120, v[52:55] offset:1920
	ds_store_b128 v120, v[56:59]
	scratch_load_b32 v56, off, off offset:1508 th:TH_LOAD_LU ; 4-byte Folded Reload
	v_add_f64_e64 v[52:53], v[48:49], -v[116:117]
	v_add_f64_e64 v[54:55], v[50:51], -v[118:119]
	s_delay_alu instid0(VALU_DEP_2) | instskip(NEXT) | instid1(VALU_DEP_2)
	v_fma_f64 v[48:49], v[48:49], 2.0, -v[52:53]
	v_fma_f64 v[50:51], v[50:51], 2.0, -v[54:55]
	s_wait_loadcnt 0x0
	ds_store_b128 v56, v[48:51]
	ds_store_b128 v56, v[52:55] offset:1920
	scratch_load_b32 v52, off, off offset:1504 th:TH_LOAD_LU ; 4-byte Folded Reload
	v_add_f64_e64 v[48:49], v[44:45], -v[112:113]
	v_add_f64_e64 v[50:51], v[46:47], -v[114:115]
	s_delay_alu instid0(VALU_DEP_2) | instskip(NEXT) | instid1(VALU_DEP_2)
	v_fma_f64 v[44:45], v[44:45], 2.0, -v[48:49]
	v_fma_f64 v[46:47], v[46:47], 2.0, -v[50:51]
	s_wait_loadcnt 0x0
	ds_store_b128 v52, v[44:47]
	ds_store_b128 v52, v[48:51] offset:1920
	;; [unrolled: 9-line block ×14, first 2 shown]
	global_wb scope:SCOPE_SE
	s_wait_dscnt 0x0
	s_barrier_signal -1
	s_barrier_wait -1
	global_inv scope:SCOPE_SE
	s_clause 0x2
	scratch_load_b128 v[6:9], off, off offset:1516 th:TH_LOAD_LU
	scratch_load_b128 v[10:13], off, off offset:1532 th:TH_LOAD_LU
	;; [unrolled: 1-line block ×3, first 2 shown]
	ds_load_b128 v[0:3], v253 offset:30720
	s_wait_loadcnt_dscnt 0x200
	v_mul_f64_e32 v[4:5], v[8:9], v[2:3]
	s_delay_alu instid0(VALU_DEP_1) | instskip(SKIP_1) | instid1(VALU_DEP_1)
	v_fma_f64 v[4:5], v[6:7], v[0:1], v[4:5]
	v_mul_f64_e32 v[0:1], v[8:9], v[0:1]
	v_fma_f64 v[6:7], v[6:7], v[2:3], -v[0:1]
	ds_load_b128 v[0:3], v253 offset:32768
	s_wait_loadcnt_dscnt 0x100
	v_mul_f64_e32 v[8:9], v[12:13], v[2:3]
	s_delay_alu instid0(VALU_DEP_1) | instskip(SKIP_1) | instid1(VALU_DEP_1)
	v_fma_f64 v[8:9], v[10:11], v[0:1], v[8:9]
	v_mul_f64_e32 v[0:1], v[12:13], v[0:1]
	v_fma_f64 v[10:11], v[10:11], v[2:3], -v[0:1]
	;; [unrolled: 7-line block ×3, first 2 shown]
	scratch_load_b128 v[14:17], off, off offset:1564 th:TH_LOAD_LU ; 16-byte Folded Reload
	ds_load_b128 v[0:3], v253 offset:36864
	s_wait_loadcnt_dscnt 0x0
	v_mul_f64_e32 v[12:13], v[16:17], v[2:3]
	s_delay_alu instid0(VALU_DEP_1) | instskip(SKIP_1) | instid1(VALU_DEP_1)
	v_fma_f64 v[116:117], v[14:15], v[0:1], v[12:13]
	v_mul_f64_e32 v[0:1], v[16:17], v[0:1]
	v_fma_f64 v[118:119], v[14:15], v[2:3], -v[0:1]
	scratch_load_b128 v[14:17], off, off offset:1580 th:TH_LOAD_LU ; 16-byte Folded Reload
	ds_load_b128 v[0:3], v253 offset:38912
	s_wait_loadcnt_dscnt 0x0
	v_mul_f64_e32 v[12:13], v[16:17], v[2:3]
	s_delay_alu instid0(VALU_DEP_1) | instskip(SKIP_1) | instid1(VALU_DEP_1)
	v_fma_f64 v[108:109], v[14:15], v[0:1], v[12:13]
	v_mul_f64_e32 v[0:1], v[16:17], v[0:1]
	v_fma_f64 v[110:111], v[14:15], v[2:3], -v[0:1]
	;; [unrolled: 8-line block ×12, first 2 shown]
	ds_load_b128 v[0:3], v253
	s_wait_dscnt 0x0
	v_add_f64_e64 v[56:57], v[0:1], -v[4:5]
	v_add_f64_e64 v[58:59], v[2:3], -v[6:7]
	s_delay_alu instid0(VALU_DEP_2) | instskip(NEXT) | instid1(VALU_DEP_2)
	v_fma_f64 v[60:61], v[0:1], 2.0, -v[56:57]
	v_fma_f64 v[62:63], v[2:3], 2.0, -v[58:59]
	ds_load_b128 v[0:3], v253 offset:2048
	s_wait_dscnt 0x0
	v_add_f64_e64 v[48:49], v[0:1], -v[8:9]
	v_add_f64_e64 v[50:51], v[2:3], -v[10:11]
	s_delay_alu instid0(VALU_DEP_2) | instskip(NEXT) | instid1(VALU_DEP_2)
	v_fma_f64 v[52:53], v[0:1], 2.0, -v[48:49]
	v_fma_f64 v[54:55], v[2:3], 2.0, -v[50:51]
	ds_load_b128 v[44:47], v253 offset:4096
	ds_load_b128 v[40:43], v253 offset:6144
	;; [unrolled: 1-line block ×13, first 2 shown]
	global_wb scope:SCOPE_SE
	s_wait_dscnt 0x0
	s_barrier_signal -1
	s_barrier_wait -1
	global_inv scope:SCOPE_SE
	ds_store_b128 v253, v[56:59] offset:3840
	ds_store_b128 v253, v[60:63]
	scratch_load_b32 v56, off, off offset:1804 th:TH_LOAD_LU ; 4-byte Folded Reload
	s_wait_loadcnt 0x0
	ds_store_b128 v56, v[52:55]
	ds_store_b128 v56, v[48:51] offset:3840
	v_add_f64_e64 v[48:49], v[44:45], -v[112:113]
	v_add_f64_e64 v[50:51], v[46:47], -v[114:115]
	;; [unrolled: 1-line block ×4, first 2 shown]
	s_delay_alu instid0(VALU_DEP_4) | instskip(NEXT) | instid1(VALU_DEP_4)
	v_fma_f64 v[44:45], v[44:45], 2.0, -v[48:49]
	v_fma_f64 v[46:47], v[46:47], 2.0, -v[50:51]
	ds_store_b128 v253, v[44:47] offset:7936
	ds_store_b128 v253, v[48:51] offset:11776
	scratch_load_b32 v44, off, off offset:1800 th:TH_LOAD_LU ; 4-byte Folded Reload
	v_fma_f64 v[40:41], v[40:41], 2.0, -v[52:53]
	v_fma_f64 v[42:43], v[42:43], 2.0, -v[54:55]
	s_wait_loadcnt 0x0
	ds_store_b128 v44, v[40:43]
	ds_store_b128 v44, v[52:55] offset:3840
	scratch_load_b32 v44, off, off offset:1796 th:TH_LOAD_LU ; 4-byte Folded Reload
	v_add_f64_e64 v[40:41], v[36:37], -v[108:109]
	v_add_f64_e64 v[42:43], v[38:39], -v[110:111]
	s_delay_alu instid0(VALU_DEP_2) | instskip(NEXT) | instid1(VALU_DEP_2)
	v_fma_f64 v[36:37], v[36:37], 2.0, -v[40:41]
	v_fma_f64 v[38:39], v[38:39], 2.0, -v[42:43]
	s_wait_loadcnt 0x0
	ds_store_b128 v44, v[36:39] offset:15360
	ds_store_b128 v44, v[40:43] offset:19200
	scratch_load_b32 v40, off, off offset:1792 th:TH_LOAD_LU ; 4-byte Folded Reload
	v_add_f64_e64 v[36:37], v[32:33], -v[104:105]
	v_add_f64_e64 v[38:39], v[34:35], -v[106:107]
	s_delay_alu instid0(VALU_DEP_2) | instskip(NEXT) | instid1(VALU_DEP_2)
	v_fma_f64 v[32:33], v[32:33], 2.0, -v[36:37]
	v_fma_f64 v[34:35], v[34:35], 2.0, -v[38:39]
	s_wait_loadcnt 0x0
	ds_store_b128 v40, v[32:35]
	ds_store_b128 v40, v[36:39] offset:3840
	scratch_load_b32 v36, off, off offset:1788 th:TH_LOAD_LU ; 4-byte Folded Reload
	v_add_f64_e64 v[32:33], v[28:29], -v[100:101]
	v_add_f64_e64 v[34:35], v[30:31], -v[102:103]
	s_delay_alu instid0(VALU_DEP_2) | instskip(NEXT) | instid1(VALU_DEP_2)
	v_fma_f64 v[28:29], v[28:29], 2.0, -v[32:33]
	v_fma_f64 v[30:31], v[30:31], 2.0, -v[34:35]
	s_wait_loadcnt 0x0
	ds_store_b128 v36, v[28:31] offset:23040
	ds_store_b128 v36, v[32:35] offset:26880
	scratch_load_b32 v32, off, off offset:1784 th:TH_LOAD_LU ; 4-byte Folded Reload
	v_add_f64_e64 v[28:29], v[24:25], -v[96:97]
	v_add_f64_e64 v[30:31], v[26:27], -v[98:99]
	s_delay_alu instid0(VALU_DEP_2) | instskip(NEXT) | instid1(VALU_DEP_2)
	;; [unrolled: 18-line block ×5, first 2 shown]
	v_fma_f64 v[0:1], v[0:1], 2.0, -v[4:5]
	v_fma_f64 v[2:3], v[2:3], 2.0, -v[6:7]
	s_wait_loadcnt 0x0
	ds_store_b128 v8, v[0:3]
	ds_store_b128 v8, v[4:7] offset:3840
	scratch_load_b32 v8, off, off offset:1756 th:TH_LOAD_LU ; 4-byte Folded Reload
	v_add_f64_e64 v[0:1], v[64:65], -v[68:69]
	v_add_f64_e64 v[2:3], v[66:67], -v[70:71]
	s_delay_alu instid0(VALU_DEP_2) | instskip(NEXT) | instid1(VALU_DEP_2)
	v_fma_f64 v[4:5], v[64:65], 2.0, -v[0:1]
	v_fma_f64 v[6:7], v[66:67], 2.0, -v[2:3]
	s_wait_loadcnt 0x0
	ds_store_b128 v8, v[4:7] offset:53760
	ds_store_b128 v8, v[0:3] offset:57600
	global_wb scope:SCOPE_SE
	s_wait_dscnt 0x0
	s_barrier_signal -1
	s_barrier_wait -1
	global_inv scope:SCOPE_SE
	s_clause 0x3
	scratch_load_b128 v[6:9], off, off offset:1808 th:TH_LOAD_LU
	scratch_load_b128 v[10:13], off, off offset:1824 th:TH_LOAD_LU
	;; [unrolled: 1-line block ×4, first 2 shown]
	ds_load_b128 v[0:3], v253 offset:30720
	scratch_load_b128 v[22:25], off, off offset:1876 th:TH_LOAD_LU ; 16-byte Folded Reload
	s_wait_loadcnt_dscnt 0x400
	v_mul_f64_e32 v[4:5], v[8:9], v[2:3]
	s_delay_alu instid0(VALU_DEP_1) | instskip(SKIP_1) | instid1(VALU_DEP_1)
	v_fma_f64 v[4:5], v[6:7], v[0:1], v[4:5]
	v_mul_f64_e32 v[0:1], v[8:9], v[0:1]
	v_fma_f64 v[6:7], v[6:7], v[2:3], -v[0:1]
	ds_load_b128 v[0:3], v253 offset:32768
	s_wait_loadcnt_dscnt 0x300
	v_mul_f64_e32 v[8:9], v[12:13], v[2:3]
	s_delay_alu instid0(VALU_DEP_1) | instskip(SKIP_1) | instid1(VALU_DEP_1)
	v_fma_f64 v[8:9], v[10:11], v[0:1], v[8:9]
	v_mul_f64_e32 v[0:1], v[12:13], v[0:1]
	v_fma_f64 v[10:11], v[10:11], v[2:3], -v[0:1]
	ds_load_b128 v[0:3], v253 offset:34816
	;; [unrolled: 7-line block ×4, first 2 shown]
	s_wait_loadcnt_dscnt 0x0
	v_mul_f64_e32 v[20:21], v[24:25], v[2:3]
	s_delay_alu instid0(VALU_DEP_1) | instskip(SKIP_1) | instid1(VALU_DEP_1)
	v_fma_f64 v[104:105], v[22:23], v[0:1], v[20:21]
	v_mul_f64_e32 v[0:1], v[24:25], v[0:1]
	v_fma_f64 v[106:107], v[22:23], v[2:3], -v[0:1]
	scratch_load_b128 v[22:25], off, off offset:1892 th:TH_LOAD_LU ; 16-byte Folded Reload
	ds_load_b128 v[0:3], v253 offset:40960
	s_wait_loadcnt_dscnt 0x0
	v_mul_f64_e32 v[20:21], v[24:25], v[2:3]
	s_delay_alu instid0(VALU_DEP_1) | instskip(SKIP_1) | instid1(VALU_DEP_1)
	v_fma_f64 v[108:109], v[22:23], v[0:1], v[20:21]
	v_mul_f64_e32 v[0:1], v[24:25], v[0:1]
	v_fma_f64 v[110:111], v[22:23], v[2:3], -v[0:1]
	scratch_load_b128 v[22:25], off, off offset:1908 th:TH_LOAD_LU ; 16-byte Folded Reload
	ds_load_b128 v[0:3], v253 offset:43008
	;; [unrolled: 8-line block ×9, first 2 shown]
	s_wait_loadcnt_dscnt 0x0
	v_mul_f64_e32 v[20:21], v[24:25], v[2:3]
	s_delay_alu instid0(VALU_DEP_1) | instskip(SKIP_1) | instid1(VALU_DEP_1)
	v_fma_f64 v[80:81], v[22:23], v[0:1], v[20:21]
	v_mul_f64_e32 v[0:1], v[24:25], v[0:1]
	v_fma_f64 v[82:83], v[22:23], v[2:3], -v[0:1]
	ds_load_b128 v[0:3], v253 offset:59392
	s_wait_dscnt 0x0
	v_mul_f64_e32 v[20:21], v[251:252], v[2:3]
	s_delay_alu instid0(VALU_DEP_1) | instskip(SKIP_1) | instid1(VALU_DEP_1)
	v_fma_f64 v[76:77], v[249:250], v[0:1], v[20:21]
	v_mul_f64_e32 v[0:1], v[251:252], v[0:1]
	v_fma_f64 v[78:79], v[249:250], v[2:3], -v[0:1]
	ds_load_b128 v[0:3], v253
	s_wait_dscnt 0x0
	v_add_f64_e64 v[68:69], v[0:1], -v[4:5]
	v_add_f64_e64 v[70:71], v[2:3], -v[6:7]
	s_delay_alu instid0(VALU_DEP_2) | instskip(NEXT) | instid1(VALU_DEP_2)
	v_fma_f64 v[44:45], v[0:1], 2.0, -v[68:69]
	v_fma_f64 v[46:47], v[2:3], 2.0, -v[70:71]
	ds_load_b128 v[0:3], v253 offset:2048
	s_wait_dscnt 0x0
	v_add_f64_e64 v[64:65], v[0:1], -v[8:9]
	v_add_f64_e64 v[66:67], v[2:3], -v[10:11]
	s_delay_alu instid0(VALU_DEP_2) | instskip(NEXT) | instid1(VALU_DEP_2)
	v_fma_f64 v[48:49], v[0:1], 2.0, -v[64:65]
	v_fma_f64 v[50:51], v[2:3], 2.0, -v[66:67]
	ds_load_b128 v[0:3], v253 offset:4096
	;; [unrolled: 7-line block ×4, first 2 shown]
	ds_load_b128 v[32:35], v253 offset:10240
	ds_load_b128 v[28:31], v253 offset:12288
	;; [unrolled: 1-line block ×10, first 2 shown]
	global_wb scope:SCOPE_SE
	s_wait_dscnt 0x0
	s_barrier_signal -1
	s_barrier_wait -1
	global_inv scope:SCOPE_SE
	ds_store_b128 v253, v[68:71] offset:7680
	ds_store_b128 v253, v[64:67] offset:9728
	ds_store_b128 v253, v[60:63] offset:11776
	ds_store_b128 v253, v[44:47]
	ds_store_b128 v253, v[48:51] offset:2048
	ds_store_b128 v253, v[56:59] offset:4096
	scratch_load_b32 v44, off, off offset:2064 th:TH_LOAD_LU ; 4-byte Folded Reload
	s_wait_loadcnt 0x0
	ds_store_b128 v44, v[52:55]
	ds_store_b128 v44, v[40:43] offset:7680
	v_add_f64_e64 v[40:41], v[36:37], -v[104:105]
	v_add_f64_e64 v[42:43], v[38:39], -v[106:107]
	;; [unrolled: 1-line block ×8, first 2 shown]
	v_fma_f64 v[36:37], v[36:37], 2.0, -v[40:41]
	v_fma_f64 v[38:39], v[38:39], 2.0, -v[42:43]
	;; [unrolled: 1-line block ×6, first 2 shown]
	ds_store_b128 v253, v[36:39] offset:15872
	ds_store_b128 v253, v[40:43] offset:23552
	;; [unrolled: 1-line block ×6, first 2 shown]
	scratch_load_b32 v28, off, off offset:2060 th:TH_LOAD_LU ; 4-byte Folded Reload
	v_fma_f64 v[24:25], v[24:25], 2.0, -v[52:53]
	v_fma_f64 v[26:27], v[26:27], 2.0, -v[54:55]
	s_wait_loadcnt 0x0
	ds_store_b128 v28, v[24:27]
	ds_store_b128 v28, v[52:55] offset:7680
	scratch_load_b32 v28, off, off offset:2040 th:TH_LOAD_LU ; 4-byte Folded Reload
	v_add_f64_e64 v[24:25], v[20:21], -v[100:101]
	v_add_f64_e64 v[26:27], v[22:23], -v[102:103]
	s_delay_alu instid0(VALU_DEP_2) | instskip(NEXT) | instid1(VALU_DEP_2)
	v_fma_f64 v[20:21], v[20:21], 2.0, -v[24:25]
	v_fma_f64 v[22:23], v[22:23], 2.0, -v[26:27]
	s_wait_loadcnt 0x0
	ds_store_b128 v28, v[20:23] offset:30720
	ds_store_b128 v28, v[24:27] offset:38400
	scratch_load_b32 v24, off, off offset:2004 th:TH_LOAD_LU ; 4-byte Folded Reload
	v_add_f64_e64 v[20:21], v[16:17], -v[96:97]
	v_add_f64_e64 v[22:23], v[18:19], -v[98:99]
	s_delay_alu instid0(VALU_DEP_2) | instskip(NEXT) | instid1(VALU_DEP_2)
	v_fma_f64 v[16:17], v[16:17], 2.0, -v[20:21]
	v_fma_f64 v[18:19], v[18:19], 2.0, -v[22:23]
	s_wait_loadcnt 0x0
	ds_store_b128 v24, v[16:19] offset:30720
	;; [unrolled: 9-line block ×3, first 2 shown]
	ds_store_b128 v20, v[16:19] offset:38400
	scratch_load_b32 v16, off, off offset:1964 th:TH_LOAD_LU ; 4-byte Folded Reload
	v_add_f64_e64 v[12:13], v[8:9], -v[88:89]
	v_add_f64_e64 v[14:15], v[10:11], -v[90:91]
	s_delay_alu instid0(VALU_DEP_2) | instskip(NEXT) | instid1(VALU_DEP_2)
	v_fma_f64 v[8:9], v[8:9], 2.0, -v[12:13]
	v_fma_f64 v[10:11], v[10:11], 2.0, -v[14:15]
	s_wait_loadcnt 0x0
	ds_store_b128 v16, v[8:11]
	ds_store_b128 v16, v[12:15] offset:7680
	scratch_load_b32 v12, off, off offset:1944 th:TH_LOAD_LU ; 4-byte Folded Reload
	v_add_f64_e64 v[8:9], v[4:5], -v[84:85]
	v_add_f64_e64 v[10:11], v[6:7], -v[86:87]
	s_delay_alu instid0(VALU_DEP_2) | instskip(NEXT) | instid1(VALU_DEP_2)
	v_fma_f64 v[4:5], v[4:5], 2.0, -v[8:9]
	v_fma_f64 v[6:7], v[6:7], 2.0, -v[10:11]
	s_wait_loadcnt 0x0
	ds_store_b128 v12, v[4:7] offset:46080
	ds_store_b128 v12, v[8:11] offset:53760
	scratch_load_b32 v8, off, off offset:1924 th:TH_LOAD_LU ; 4-byte Folded Reload
	v_add_f64_e64 v[4:5], v[0:1], -v[80:81]
	v_add_f64_e64 v[6:7], v[2:3], -v[82:83]
	s_delay_alu instid0(VALU_DEP_2) | instskip(NEXT) | instid1(VALU_DEP_2)
	v_fma_f64 v[0:1], v[0:1], 2.0, -v[4:5]
	v_fma_f64 v[2:3], v[2:3], 2.0, -v[6:7]
	s_wait_loadcnt 0x0
	ds_store_b128 v8, v[0:3] offset:46080
	ds_store_b128 v8, v[4:7] offset:53760
	scratch_load_b32 v8, off, off offset:1872 th:TH_LOAD_LU ; 4-byte Folded Reload
	v_add_f64_e64 v[0:1], v[72:73], -v[76:77]
	v_add_f64_e64 v[2:3], v[74:75], -v[78:79]
	s_delay_alu instid0(VALU_DEP_2) | instskip(NEXT) | instid1(VALU_DEP_2)
	v_fma_f64 v[4:5], v[72:73], 2.0, -v[0:1]
	v_fma_f64 v[6:7], v[74:75], 2.0, -v[2:3]
	s_wait_loadcnt 0x0
	ds_store_b128 v8, v[4:7] offset:46080
	ds_store_b128 v8, v[0:3] offset:53760
	global_wb scope:SCOPE_SE
	s_wait_dscnt 0x0
	s_barrier_signal -1
	s_barrier_wait -1
	global_inv scope:SCOPE_SE
	ds_load_b128 v[0:3], v253 offset:30720
	s_wait_dscnt 0x0
	v_mul_f64_e32 v[4:5], v[247:248], v[2:3]
	s_delay_alu instid0(VALU_DEP_1) | instskip(SKIP_1) | instid1(VALU_DEP_1)
	v_fma_f64 v[4:5], v[245:246], v[0:1], v[4:5]
	v_mul_f64_e32 v[0:1], v[247:248], v[0:1]
	v_fma_f64 v[6:7], v[245:246], v[2:3], -v[0:1]
	ds_load_b128 v[0:3], v253 offset:32768
	s_wait_dscnt 0x0
	v_mul_f64_e32 v[8:9], v[243:244], v[2:3]
	s_delay_alu instid0(VALU_DEP_1) | instskip(SKIP_1) | instid1(VALU_DEP_1)
	v_fma_f64 v[8:9], v[241:242], v[0:1], v[8:9]
	v_mul_f64_e32 v[0:1], v[243:244], v[0:1]
	v_fma_f64 v[10:11], v[241:242], v[2:3], -v[0:1]
	;; [unrolled: 7-line block ×15, first 2 shown]
	ds_load_b128 v[0:3], v253
	s_wait_dscnt 0x0
	v_add_f64_e64 v[84:85], v[0:1], -v[4:5]
	v_add_f64_e64 v[86:87], v[2:3], -v[6:7]
	s_delay_alu instid0(VALU_DEP_2) | instskip(NEXT) | instid1(VALU_DEP_2)
	v_fma_f64 v[16:17], v[0:1], 2.0, -v[84:85]
	v_fma_f64 v[18:19], v[2:3], 2.0, -v[86:87]
	ds_load_b128 v[0:3], v253 offset:2048
	s_wait_dscnt 0x0
	v_add_f64_e64 v[80:81], v[0:1], -v[8:9]
	v_add_f64_e64 v[82:83], v[2:3], -v[10:11]
	s_delay_alu instid0(VALU_DEP_2) | instskip(NEXT) | instid1(VALU_DEP_2)
	v_fma_f64 v[24:25], v[0:1], 2.0, -v[80:81]
	v_fma_f64 v[26:27], v[2:3], 2.0, -v[82:83]
	ds_load_b128 v[0:3], v253 offset:4096
	;; [unrolled: 7-line block ×8, first 2 shown]
	ds_load_b128 v[20:23], v253 offset:18432
	ds_load_b128 v[12:15], v253 offset:20480
	;; [unrolled: 1-line block ×6, first 2 shown]
	global_wb scope:SCOPE_SE
	s_wait_dscnt 0x0
	s_barrier_signal -1
	s_barrier_wait -1
	global_inv scope:SCOPE_SE
	ds_store_b128 v253, v[84:87] offset:15360
	ds_store_b128 v253, v[80:83] offset:17408
	;; [unrolled: 1-line block ×7, first 2 shown]
	ds_store_b128 v253, v[16:19]
	ds_store_b128 v253, v[24:27] offset:2048
	ds_store_b128 v253, v[28:31] offset:4096
	;; [unrolled: 1-line block ×6, first 2 shown]
	scratch_load_b32 v16, off, off offset:2068 th:TH_LOAD_LU ; 4-byte Folded Reload
	s_wait_loadcnt 0x0
	ds_store_b128 v16, v[48:51]
	ds_store_b128 v16, v[36:39] offset:15360
	v_add_f64_e64 v[16:17], v[32:33], -v[98:99]
	v_add_f64_e64 v[18:19], v[34:35], -v[104:105]
	;; [unrolled: 1-line block ×12, first 2 shown]
	v_fma_f64 v[24:25], v[32:33], 2.0, -v[16:17]
	v_fma_f64 v[26:27], v[34:35], 2.0, -v[18:19]
	v_add_f64_e64 v[32:33], v[12:13], -v[92:93]
	v_add_f64_e64 v[34:35], v[14:15], -v[94:95]
	v_fma_f64 v[20:21], v[20:21], 2.0, -v[28:29]
	v_fma_f64 v[22:23], v[22:23], 2.0, -v[30:31]
	;; [unrolled: 1-line block ×12, first 2 shown]
	ds_store_b128 v253, v[24:27] offset:31744
	ds_store_b128 v253, v[16:19] offset:47104
	;; [unrolled: 1-line block ×14, first 2 shown]
	global_wb scope:SCOPE_SE
	s_wait_dscnt 0x0
	s_barrier_signal -1
	s_barrier_wait -1
	global_inv scope:SCOPE_SE
	ds_load_b128 v[0:3], v253 offset:30720
	ds_load_b128 v[112:115], v253 offset:28672
	ds_load_b128 v[16:19], v253 offset:4096
	ds_load_b128 v[24:27], v253 offset:6144
	ds_load_b128 v[32:35], v253 offset:8192
	ds_load_b128 v[40:43], v253 offset:10240
	ds_load_b128 v[48:51], v253 offset:12288
	ds_load_b128 v[56:59], v253 offset:14336
	ds_load_b128 v[64:67], v253 offset:16384
	ds_load_b128 v[72:75], v253 offset:18432
	ds_load_b128 v[80:83], v253 offset:20480
	ds_load_b128 v[88:91], v253 offset:22528
	ds_load_b128 v[96:99], v253 offset:24576
	ds_load_b128 v[104:107], v253 offset:26624
	s_wait_dscnt 0xd
	v_mul_f64_e32 v[4:5], v[127:128], v[2:3]
	s_delay_alu instid0(VALU_DEP_1) | instskip(SKIP_1) | instid1(VALU_DEP_1)
	v_fma_f64 v[4:5], v[125:126], v[0:1], v[4:5]
	v_mul_f64_e32 v[0:1], v[127:128], v[0:1]
	v_fma_f64 v[6:7], v[125:126], v[2:3], -v[0:1]
	ds_load_b128 v[0:3], v253 offset:32768
	s_wait_dscnt 0x0
	v_mul_f64_e32 v[8:9], v[171:172], v[2:3]
	s_delay_alu instid0(VALU_DEP_1) | instskip(SKIP_1) | instid1(VALU_DEP_1)
	v_fma_f64 v[12:13], v[169:170], v[0:1], v[8:9]
	v_mul_f64_e32 v[0:1], v[171:172], v[0:1]
	v_fma_f64 v[14:15], v[169:170], v[2:3], -v[0:1]
	ds_load_b128 v[0:3], v253 offset:34816
	s_wait_dscnt 0x0
	v_mul_f64_e32 v[8:9], v[187:188], v[2:3]
	s_delay_alu instid0(VALU_DEP_1) | instskip(SKIP_1) | instid1(VALU_DEP_2)
	v_fma_f64 v[20:21], v[185:186], v[0:1], v[8:9]
	v_mul_f64_e32 v[0:1], v[187:188], v[0:1]
	v_add_f64_e64 v[20:21], v[16:17], -v[20:21]
	s_delay_alu instid0(VALU_DEP_2)
	v_fma_f64 v[22:23], v[185:186], v[2:3], -v[0:1]
	ds_load_b128 v[0:3], v253 offset:36864
	s_wait_dscnt 0x0
	v_mul_f64_e32 v[8:9], v[183:184], v[2:3]
	v_fma_f64 v[16:17], v[16:17], 2.0, -v[20:21]
	v_add_f64_e64 v[22:23], v[18:19], -v[22:23]
	s_delay_alu instid0(VALU_DEP_3) | instskip(SKIP_1) | instid1(VALU_DEP_3)
	v_fma_f64 v[28:29], v[181:182], v[0:1], v[8:9]
	v_mul_f64_e32 v[0:1], v[183:184], v[0:1]
	v_fma_f64 v[18:19], v[18:19], 2.0, -v[22:23]
	s_delay_alu instid0(VALU_DEP_3) | instskip(NEXT) | instid1(VALU_DEP_3)
	v_add_f64_e64 v[28:29], v[24:25], -v[28:29]
	v_fma_f64 v[30:31], v[181:182], v[2:3], -v[0:1]
	ds_load_b128 v[0:3], v253 offset:38912
	s_wait_dscnt 0x0
	v_mul_f64_e32 v[8:9], v[179:180], v[2:3]
	v_fma_f64 v[24:25], v[24:25], 2.0, -v[28:29]
	v_add_f64_e64 v[30:31], v[26:27], -v[30:31]
	s_delay_alu instid0(VALU_DEP_3) | instskip(SKIP_1) | instid1(VALU_DEP_3)
	v_fma_f64 v[36:37], v[177:178], v[0:1], v[8:9]
	v_mul_f64_e32 v[0:1], v[179:180], v[0:1]
	v_fma_f64 v[26:27], v[26:27], 2.0, -v[30:31]
	s_delay_alu instid0(VALU_DEP_3) | instskip(NEXT) | instid1(VALU_DEP_3)
	v_add_f64_e64 v[36:37], v[32:33], -v[36:37]
	;; [unrolled: 12-line block ×11, first 2 shown]
	v_fma_f64 v[110:111], v[133:134], v[2:3], -v[0:1]
	ds_load_b128 v[0:3], v253 offset:59392
	s_wait_dscnt 0x0
	v_mul_f64_e32 v[8:9], v[131:132], v[2:3]
	v_fma_f64 v[104:105], v[104:105], 2.0, -v[108:109]
	v_add_f64_e64 v[110:111], v[106:107], -v[110:111]
	s_delay_alu instid0(VALU_DEP_3)
	v_fma_f64 v[116:117], v[129:130], v[0:1], v[8:9]
	v_mul_f64_e32 v[0:1], v[131:132], v[0:1]
	ds_load_b128 v[8:11], v253 offset:2048
	v_fma_f64 v[106:107], v[106:107], 2.0, -v[110:111]
	s_wait_dscnt 0x0
	v_add_f64_e64 v[12:13], v[8:9], -v[12:13]
	v_add_f64_e64 v[14:15], v[10:11], -v[14:15]
	;; [unrolled: 1-line block ×3, first 2 shown]
	v_fma_f64 v[118:119], v[129:130], v[2:3], -v[0:1]
	ds_load_b128 v[0:3], v253
	s_wait_dscnt 0x0
	v_add_f64_e64 v[4:5], v[0:1], -v[4:5]
	v_add_f64_e64 v[6:7], v[2:3], -v[6:7]
	v_fma_f64 v[8:9], v[8:9], 2.0, -v[12:13]
	v_fma_f64 v[10:11], v[10:11], 2.0, -v[14:15]
	;; [unrolled: 1-line block ×3, first 2 shown]
	v_add_f64_e64 v[118:119], v[114:115], -v[118:119]
	v_fma_f64 v[0:1], v[0:1], 2.0, -v[4:5]
	v_fma_f64 v[2:3], v[2:3], 2.0, -v[6:7]
	s_delay_alu instid0(VALU_DEP_3)
	v_fma_f64 v[114:115], v[114:115], 2.0, -v[118:119]
	ds_store_b128 v253, v[4:7] offset:30720
	ds_store_b128 v253, v[12:15] offset:32768
	;; [unrolled: 1-line block ×15, first 2 shown]
	ds_store_b128 v253, v[0:3]
	ds_store_b128 v253, v[8:11] offset:2048
	ds_store_b128 v253, v[16:19] offset:4096
	;; [unrolled: 1-line block ×14, first 2 shown]
	global_wb scope:SCOPE_SE
	s_wait_dscnt 0x0
	s_barrier_signal -1
	s_barrier_wait -1
	global_inv scope:SCOPE_SE
	s_clause 0x1
	scratch_load_b128 v[6:9], off, off offset:8 th:TH_LOAD_LU
	scratch_load_b128 v[10:13], off, off offset:200 th:TH_LOAD_LU
	ds_load_b128 v[0:3], v253
	s_clause 0x10
	scratch_load_b128 v[14:17], off, off offset:216 th:TH_LOAD_LU
	scratch_load_b128 v[18:21], off, off offset:232 th:TH_LOAD_LU
	;; [unrolled: 1-line block ×17, first 2 shown]
	s_wait_loadcnt_dscnt 0x1200
	v_mul_f64_e32 v[4:5], v[8:9], v[2:3]
	s_delay_alu instid0(VALU_DEP_1) | instskip(SKIP_2) | instid1(VALU_DEP_2)
	v_fma_f64 v[112:113], v[6:7], v[0:1], v[4:5]
	v_mul_f64_e32 v[0:1], v[8:9], v[0:1]
	s_wait_alu 0xfffe
	v_mul_f64_e32 v[112:113], s[2:3], v[112:113]
	s_delay_alu instid0(VALU_DEP_2)
	v_fma_f64 v[114:115], v[6:7], v[2:3], -v[0:1]
	scratch_load_b128 v[6:9], off, off offset:184 th:TH_LOAD_LU ; 16-byte Folded Reload
	ds_load_b128 v[0:3], v253 offset:6144
	v_mul_f64_e32 v[114:115], s[2:3], v[114:115]
	s_wait_loadcnt_dscnt 0x0
	v_mul_f64_e32 v[4:5], v[8:9], v[2:3]
	s_delay_alu instid0(VALU_DEP_1) | instskip(SKIP_1) | instid1(VALU_DEP_1)
	v_fma_f64 v[116:117], v[6:7], v[0:1], v[4:5]
	v_mul_f64_e32 v[0:1], v[8:9], v[0:1]
	v_fma_f64 v[118:119], v[6:7], v[2:3], -v[0:1]
	scratch_load_b128 v[6:9], off, off offset:168 th:TH_LOAD_LU ; 16-byte Folded Reload
	ds_load_b128 v[0:3], v253 offset:12288
	s_wait_loadcnt_dscnt 0x0
	v_mul_f64_e32 v[4:5], v[8:9], v[2:3]
	s_delay_alu instid0(VALU_DEP_1) | instskip(SKIP_1) | instid1(VALU_DEP_2)
	v_fma_f64 v[108:109], v[6:7], v[0:1], v[4:5]
	v_mul_f64_e32 v[0:1], v[8:9], v[0:1]
	v_mul_f64_e32 v[108:109], s[2:3], v[108:109]
	s_delay_alu instid0(VALU_DEP_2)
	v_fma_f64 v[110:111], v[6:7], v[2:3], -v[0:1]
	scratch_load_b128 v[6:9], off, off offset:152 th:TH_LOAD_LU ; 16-byte Folded Reload
	ds_load_b128 v[0:3], v253 offset:18432
	v_mul_f64_e32 v[110:111], s[2:3], v[110:111]
	s_wait_loadcnt_dscnt 0x0
	v_mul_f64_e32 v[4:5], v[8:9], v[2:3]
	s_delay_alu instid0(VALU_DEP_1) | instskip(SKIP_1) | instid1(VALU_DEP_1)
	v_fma_f64 v[94:95], v[6:7], v[0:1], v[4:5]
	v_mul_f64_e32 v[0:1], v[8:9], v[0:1]
	v_fma_f64 v[100:101], v[6:7], v[2:3], -v[0:1]
	scratch_load_b128 v[6:9], off, off offset:136 th:TH_LOAD_LU ; 16-byte Folded Reload
	ds_load_b128 v[0:3], v253 offset:24576
	s_wait_loadcnt_dscnt 0x0
	v_mul_f64_e32 v[4:5], v[8:9], v[2:3]
	s_delay_alu instid0(VALU_DEP_1) | instskip(SKIP_1) | instid1(VALU_DEP_1)
	v_fma_f64 v[96:97], v[6:7], v[0:1], v[4:5]
	v_mul_f64_e32 v[0:1], v[8:9], v[0:1]
	v_fma_f64 v[102:103], v[6:7], v[2:3], -v[0:1]
	scratch_load_b128 v[6:9], off, off offset:120 th:TH_LOAD_LU ; 16-byte Folded Reload
	ds_load_b128 v[0:3], v253 offset:30720
	;; [unrolled: 8-line block ×3, first 2 shown]
	s_wait_loadcnt_dscnt 0x0
	v_mul_f64_e32 v[4:5], v[8:9], v[2:3]
	s_delay_alu instid0(VALU_DEP_1) | instskip(SKIP_1) | instid1(VALU_DEP_2)
	v_fma_f64 v[92:93], v[6:7], v[0:1], v[4:5]
	v_mul_f64_e32 v[0:1], v[8:9], v[0:1]
	v_mul_f64_e32 v[92:93], s[2:3], v[92:93]
	s_delay_alu instid0(VALU_DEP_2) | instskip(SKIP_4) | instid1(VALU_DEP_1)
	v_fma_f64 v[98:99], v[6:7], v[2:3], -v[0:1]
	scratch_load_b128 v[6:9], off, off offset:88 th:TH_LOAD_LU ; 16-byte Folded Reload
	ds_load_b128 v[0:3], v253 offset:43008
	s_wait_loadcnt_dscnt 0x0
	v_mul_f64_e32 v[4:5], v[8:9], v[2:3]
	v_fma_f64 v[88:89], v[6:7], v[0:1], v[4:5]
	v_mul_f64_e32 v[0:1], v[8:9], v[0:1]
	s_delay_alu instid0(VALU_DEP_2) | instskip(NEXT) | instid1(VALU_DEP_2)
	v_mul_f64_e32 v[88:89], s[2:3], v[88:89]
	v_fma_f64 v[90:91], v[6:7], v[2:3], -v[0:1]
	scratch_load_b128 v[6:9], off, off offset:72 th:TH_LOAD_LU ; 16-byte Folded Reload
	ds_load_b128 v[0:3], v253 offset:49152
	v_mul_f64_e32 v[90:91], s[2:3], v[90:91]
	s_wait_loadcnt_dscnt 0x0
	v_mul_f64_e32 v[4:5], v[8:9], v[2:3]
	s_delay_alu instid0(VALU_DEP_1) | instskip(SKIP_1) | instid1(VALU_DEP_2)
	v_fma_f64 v[84:85], v[6:7], v[0:1], v[4:5]
	v_mul_f64_e32 v[0:1], v[8:9], v[0:1]
	v_mul_f64_e32 v[84:85], s[2:3], v[84:85]
	s_delay_alu instid0(VALU_DEP_2)
	v_fma_f64 v[86:87], v[6:7], v[2:3], -v[0:1]
	scratch_load_b128 v[6:9], off, off offset:40 th:TH_LOAD_LU ; 16-byte Folded Reload
	ds_load_b128 v[0:3], v253 offset:55296
	v_mul_f64_e32 v[86:87], s[2:3], v[86:87]
	s_wait_loadcnt_dscnt 0x0
	v_mul_f64_e32 v[4:5], v[8:9], v[2:3]
	s_delay_alu instid0(VALU_DEP_1) | instskip(SKIP_1) | instid1(VALU_DEP_2)
	v_fma_f64 v[80:81], v[6:7], v[0:1], v[4:5]
	v_mul_f64_e32 v[0:1], v[8:9], v[0:1]
	v_mul_f64_e32 v[80:81], s[2:3], v[80:81]
	s_delay_alu instid0(VALU_DEP_2)
	;; [unrolled: 11-line block ×3, first 2 shown]
	v_fma_f64 v[78:79], v[6:7], v[2:3], -v[0:1]
	scratch_load_b128 v[6:9], off, off offset:56 th:TH_LOAD_LU ; 16-byte Folded Reload
	ds_load_b128 v[2:5], v253 offset:8192
	v_mul_f64_e32 v[78:79], s[2:3], v[78:79]
	s_wait_loadcnt_dscnt 0x0
	v_mul_f64_e32 v[0:1], v[8:9], v[4:5]
	s_delay_alu instid0(VALU_DEP_1) | instskip(SKIP_1) | instid1(VALU_DEP_2)
	v_fma_f64 v[0:1], v[6:7], v[2:3], v[0:1]
	v_mul_f64_e32 v[2:3], v[8:9], v[2:3]
	v_mul_f64_e32 v[0:1], s[2:3], v[0:1]
	s_delay_alu instid0(VALU_DEP_2) | instskip(SKIP_4) | instid1(VALU_DEP_2)
	v_fma_f64 v[2:3], v[6:7], v[4:5], -v[2:3]
	ds_load_b128 v[6:9], v253 offset:14336
	s_wait_dscnt 0x0
	v_mul_f64_e32 v[4:5], v[12:13], v[8:9]
	v_mul_f64_e32 v[2:3], s[2:3], v[2:3]
	v_fma_f64 v[4:5], v[10:11], v[6:7], v[4:5]
	v_mul_f64_e32 v[6:7], v[12:13], v[6:7]
	s_delay_alu instid0(VALU_DEP_2) | instskip(NEXT) | instid1(VALU_DEP_2)
	v_mul_f64_e32 v[4:5], s[2:3], v[4:5]
	v_fma_f64 v[6:7], v[10:11], v[8:9], -v[6:7]
	ds_load_b128 v[10:13], v253 offset:20480
	s_wait_dscnt 0x0
	v_mul_f64_e32 v[8:9], v[16:17], v[12:13]
	v_mul_f64_e32 v[6:7], s[2:3], v[6:7]
	s_delay_alu instid0(VALU_DEP_2) | instskip(SKIP_1) | instid1(VALU_DEP_2)
	v_fma_f64 v[8:9], v[14:15], v[10:11], v[8:9]
	v_mul_f64_e32 v[10:11], v[16:17], v[10:11]
	v_mul_f64_e32 v[8:9], s[2:3], v[8:9]
	s_delay_alu instid0(VALU_DEP_2) | instskip(SKIP_4) | instid1(VALU_DEP_2)
	v_fma_f64 v[10:11], v[14:15], v[12:13], -v[10:11]
	ds_load_b128 v[14:17], v253 offset:26624
	s_wait_dscnt 0x0
	v_mul_f64_e32 v[12:13], v[20:21], v[16:17]
	v_mul_f64_e32 v[10:11], s[2:3], v[10:11]
	v_fma_f64 v[12:13], v[18:19], v[14:15], v[12:13]
	v_mul_f64_e32 v[14:15], v[20:21], v[14:15]
	s_delay_alu instid0(VALU_DEP_2) | instskip(NEXT) | instid1(VALU_DEP_2)
	v_mul_f64_e32 v[12:13], s[2:3], v[12:13]
	v_fma_f64 v[14:15], v[18:19], v[16:17], -v[14:15]
	ds_load_b128 v[18:21], v253 offset:32768
	s_wait_dscnt 0x0
	v_mul_f64_e32 v[16:17], v[24:25], v[20:21]
	v_mul_f64_e32 v[14:15], s[2:3], v[14:15]
	s_delay_alu instid0(VALU_DEP_2) | instskip(SKIP_1) | instid1(VALU_DEP_2)
	;; [unrolled: 19-line block ×8, first 2 shown]
	v_fma_f64 v[64:65], v[70:71], v[66:67], v[64:65]
	v_mul_f64_e32 v[66:67], v[72:73], v[66:67]
	v_mul_f64_e32 v[64:65], s[2:3], v[64:65]
	s_delay_alu instid0(VALU_DEP_2) | instskip(SKIP_4) | instid1(VALU_DEP_2)
	v_fma_f64 v[66:67], v[70:71], v[68:69], -v[66:67]
	ds_load_b128 v[70:73], v253 offset:53248
	s_wait_dscnt 0x0
	v_mul_f64_e32 v[68:69], v[122:123], v[72:73]
	v_mul_f64_e32 v[66:67], s[2:3], v[66:67]
	v_fma_f64 v[68:69], v[120:121], v[70:71], v[68:69]
	v_mul_f64_e32 v[70:71], v[122:123], v[70:71]
	s_delay_alu instid0(VALU_DEP_2) | instskip(NEXT) | instid1(VALU_DEP_2)
	v_mul_f64_e32 v[68:69], s[2:3], v[68:69]
	v_fma_f64 v[70:71], v[120:121], v[72:73], -v[70:71]
	ds_load_b128 v[120:123], v253 offset:59392
	s_wait_dscnt 0x0
	v_mul_f64_e32 v[74:75], v[126:127], v[120:121]
	v_mul_f64_e32 v[72:73], v[126:127], v[122:123]
	;; [unrolled: 1-line block ×3, first 2 shown]
	s_delay_alu instid0(VALU_DEP_3) | instskip(SKIP_3) | instid1(VALU_DEP_2)
	v_fma_f64 v[74:75], v[124:125], v[122:123], -v[74:75]
	scratch_load_b64 v[122:123], off, off th:TH_LOAD_LU ; 8-byte Folded Reload
	v_fma_f64 v[72:73], v[124:125], v[120:121], v[72:73]
	v_mul_f64_e32 v[74:75], s[2:3], v[74:75]
	v_mul_f64_e32 v[72:73], s[2:3], v[72:73]
	s_wait_loadcnt 0x0
	v_mad_co_u64_u32 v[120:121], null, s6, v122, 0
	s_delay_alu instid0(VALU_DEP_1) | instskip(SKIP_1) | instid1(VALU_DEP_2)
	v_mad_co_u64_u32 v[121:122], null, s7, v122, v[121:122]
	v_mad_co_u64_u32 v[122:123], null, s4, v255, 0
	v_lshlrev_b64_e32 v[120:121], 4, v[120:121]
	s_delay_alu instid0(VALU_DEP_2) | instskip(NEXT) | instid1(VALU_DEP_2)
	v_mad_co_u64_u32 v[123:124], null, s5, v255, v[123:124]
	v_add_co_u32 v124, vcc_lo, s0, v120
	s_wait_alu 0xfffd
	s_delay_alu instid0(VALU_DEP_3) | instskip(NEXT) | instid1(VALU_DEP_3)
	v_add_co_ci_u32_e32 v125, vcc_lo, s1, v121, vcc_lo
	v_lshlrev_b64_e32 v[120:121], 4, v[122:123]
	s_mul_u64 s[0:1], s[4:5], 0x1800
	s_mul_i32 s5, s5, 0xffff3000
	s_wait_alu 0xfffe
	s_sub_co_i32 s5, s5, s4
	s_delay_alu instid0(VALU_DEP_1)
	v_add_co_u32 v120, vcc_lo, v124, v120
	s_wait_alu 0xfffd
	v_add_co_ci_u32_e32 v121, vcc_lo, v125, v121, vcc_lo
	global_store_b128 v[120:121], v[112:115], off
	v_mul_f64_e32 v[112:113], s[2:3], v[116:117]
	v_mul_f64_e32 v[114:115], s[2:3], v[118:119]
	v_add_co_u32 v116, vcc_lo, v120, s0
	s_wait_alu 0xfffd
	v_add_co_ci_u32_e32 v117, vcc_lo, s1, v121, vcc_lo
	global_store_b128 v[116:117], v[112:115], off
	v_add_co_u32 v112, vcc_lo, v116, s0
	s_wait_alu 0xfffd
	v_add_co_ci_u32_e32 v113, vcc_lo, s1, v117, vcc_lo
	global_store_b128 v[112:113], v[108:111], off
	v_mul_f64_e32 v[108:109], s[2:3], v[94:95]
	v_mul_f64_e32 v[110:111], s[2:3], v[100:101]
	;; [unrolled: 1-line block ×6, first 2 shown]
	v_add_co_u32 v112, vcc_lo, v112, s0
	s_wait_alu 0xfffd
	v_add_co_ci_u32_e32 v113, vcc_lo, s1, v113, vcc_lo
	s_delay_alu instid0(VALU_DEP_2) | instskip(SKIP_1) | instid1(VALU_DEP_2)
	v_add_co_u32 v104, vcc_lo, v112, s0
	s_wait_alu 0xfffd
	v_add_co_ci_u32_e32 v105, vcc_lo, s1, v113, vcc_lo
	s_delay_alu instid0(VALU_DEP_2) | instskip(SKIP_1) | instid1(VALU_DEP_2)
	v_add_co_u32 v106, vcc_lo, v104, s0
	s_wait_alu 0xfffd
	v_add_co_ci_u32_e32 v107, vcc_lo, s1, v105, vcc_lo
	s_clause 0x1
	global_store_b128 v[112:113], v[108:111], off
	global_store_b128 v[104:105], v[94:97], off
	v_add_co_u32 v96, vcc_lo, v106, s0
	v_mul_f64_e32 v[94:95], s[2:3], v[98:99]
	s_wait_alu 0xfffd
	v_add_co_ci_u32_e32 v97, vcc_lo, s1, v107, vcc_lo
	s_delay_alu instid0(VALU_DEP_3)
	v_add_co_u32 v98, vcc_lo, v96, s0
	global_store_b128 v[106:107], v[100:103], off
	s_wait_alu 0xfffd
	v_add_co_ci_u32_e32 v99, vcc_lo, s1, v97, vcc_lo
	v_add_co_u32 v104, vcc_lo, v98, s0
	s_wait_alu 0xfffd
	s_delay_alu instid0(VALU_DEP_2) | instskip(NEXT) | instid1(VALU_DEP_2)
	v_add_co_ci_u32_e32 v105, vcc_lo, s1, v99, vcc_lo
	v_add_co_u32 v100, vcc_lo, v104, s0
	s_wait_alu 0xfffd
	s_delay_alu instid0(VALU_DEP_2) | instskip(NEXT) | instid1(VALU_DEP_1)
	v_add_co_ci_u32_e32 v101, vcc_lo, s1, v105, vcc_lo
	v_mad_co_u64_u32 v[102:103], null, 0xffff3000, s4, v[100:101]
	s_wait_alu 0xfffe
	s_delay_alu instid0(VALU_DEP_1) | instskip(NEXT) | instid1(VALU_DEP_2)
	v_add_nc_u32_e32 v103, s5, v103
	v_add_co_u32 v106, vcc_lo, v102, s0
	s_wait_alu 0xfffd
	s_delay_alu instid0(VALU_DEP_2)
	v_add_co_ci_u32_e32 v107, vcc_lo, s1, v103, vcc_lo
	global_store_b128 v[96:97], v[92:95], off
	v_add_co_u32 v92, vcc_lo, v106, s0
	s_wait_alu 0xfffd
	v_add_co_ci_u32_e32 v93, vcc_lo, s1, v107, vcc_lo
	global_store_b128 v[98:99], v[88:91], off
	v_add_co_u32 v94, vcc_lo, v92, s0
	s_wait_alu 0xfffd
	;; [unrolled: 4-line block ×6, first 2 shown]
	v_add_co_ci_u32_e32 v99, vcc_lo, s1, v91, vcc_lo
	s_delay_alu instid0(VALU_DEP_2) | instskip(SKIP_1) | instid1(VALU_DEP_2)
	v_add_co_u32 v84, vcc_lo, v98, s0
	s_wait_alu 0xfffd
	v_add_co_ci_u32_e32 v85, vcc_lo, s1, v99, vcc_lo
	s_delay_alu instid0(VALU_DEP_2) | instskip(SKIP_1) | instid1(VALU_DEP_2)
	v_add_co_u32 v86, vcc_lo, v84, s0
	s_wait_alu 0xfffd
	v_add_co_ci_u32_e32 v87, vcc_lo, s1, v85, vcc_lo
	s_delay_alu instid0(VALU_DEP_1) | instskip(NEXT) | instid1(VALU_DEP_1)
	v_mad_co_u64_u32 v[104:105], null, 0xffff3000, s4, v[86:87]
	v_add_nc_u32_e32 v105, s5, v105
	s_delay_alu instid0(VALU_DEP_2) | instskip(SKIP_1) | instid1(VALU_DEP_2)
	v_add_co_u32 v80, vcc_lo, v104, s0
	s_wait_alu 0xfffd
	v_add_co_ci_u32_e32 v81, vcc_lo, s1, v105, vcc_lo
	s_delay_alu instid0(VALU_DEP_2) | instskip(SKIP_1) | instid1(VALU_DEP_2)
	v_add_co_u32 v82, vcc_lo, v80, s0
	s_wait_alu 0xfffd
	v_add_co_ci_u32_e32 v83, vcc_lo, s1, v81, vcc_lo
	;; [unrolled: 4-line block ×9, first 2 shown]
	global_store_b128 v[92:93], v[4:7], off
	global_store_b128 v[94:95], v[8:11], off
	;; [unrolled: 1-line block ×18, first 2 shown]
.LBB0_2:
	s_nop 0
	s_sendmsg sendmsg(MSG_DEALLOC_VGPRS)
	s_endpgm
	.section	.rodata,"a",@progbits
	.p2align	6, 0x0
	.amdhsa_kernel bluestein_single_fwd_len3840_dim1_dp_op_CI_CI
		.amdhsa_group_segment_fixed_size 61440
		.amdhsa_private_segment_fixed_size 2076
		.amdhsa_kernarg_size 104
		.amdhsa_user_sgpr_count 2
		.amdhsa_user_sgpr_dispatch_ptr 0
		.amdhsa_user_sgpr_queue_ptr 0
		.amdhsa_user_sgpr_kernarg_segment_ptr 1
		.amdhsa_user_sgpr_dispatch_id 0
		.amdhsa_user_sgpr_private_segment_size 0
		.amdhsa_wavefront_size32 1
		.amdhsa_uses_dynamic_stack 0
		.amdhsa_enable_private_segment 1
		.amdhsa_system_sgpr_workgroup_id_x 1
		.amdhsa_system_sgpr_workgroup_id_y 0
		.amdhsa_system_sgpr_workgroup_id_z 0
		.amdhsa_system_sgpr_workgroup_info 0
		.amdhsa_system_vgpr_workitem_id 0
		.amdhsa_next_free_vgpr 256
		.amdhsa_next_free_sgpr 31
		.amdhsa_reserve_vcc 1
		.amdhsa_float_round_mode_32 0
		.amdhsa_float_round_mode_16_64 0
		.amdhsa_float_denorm_mode_32 3
		.amdhsa_float_denorm_mode_16_64 3
		.amdhsa_fp16_overflow 0
		.amdhsa_workgroup_processor_mode 1
		.amdhsa_memory_ordered 1
		.amdhsa_forward_progress 0
		.amdhsa_round_robin_scheduling 0
		.amdhsa_exception_fp_ieee_invalid_op 0
		.amdhsa_exception_fp_denorm_src 0
		.amdhsa_exception_fp_ieee_div_zero 0
		.amdhsa_exception_fp_ieee_overflow 0
		.amdhsa_exception_fp_ieee_underflow 0
		.amdhsa_exception_fp_ieee_inexact 0
		.amdhsa_exception_int_div_zero 0
	.end_amdhsa_kernel
	.text
.Lfunc_end0:
	.size	bluestein_single_fwd_len3840_dim1_dp_op_CI_CI, .Lfunc_end0-bluestein_single_fwd_len3840_dim1_dp_op_CI_CI
                                        ; -- End function
	.section	.AMDGPU.csdata,"",@progbits
; Kernel info:
; codeLenInByte = 49968
; NumSgprs: 33
; NumVgprs: 256
; ScratchSize: 2076
; MemoryBound: 0
; FloatMode: 240
; IeeeMode: 1
; LDSByteSize: 61440 bytes/workgroup (compile time only)
; SGPRBlocks: 4
; VGPRBlocks: 31
; NumSGPRsForWavesPerEU: 33
; NumVGPRsForWavesPerEU: 256
; Occupancy: 2
; WaveLimiterHint : 1
; COMPUTE_PGM_RSRC2:SCRATCH_EN: 1
; COMPUTE_PGM_RSRC2:USER_SGPR: 2
; COMPUTE_PGM_RSRC2:TRAP_HANDLER: 0
; COMPUTE_PGM_RSRC2:TGID_X_EN: 1
; COMPUTE_PGM_RSRC2:TGID_Y_EN: 0
; COMPUTE_PGM_RSRC2:TGID_Z_EN: 0
; COMPUTE_PGM_RSRC2:TIDIG_COMP_CNT: 0
	.text
	.p2alignl 7, 3214868480
	.fill 96, 4, 3214868480
	.type	__hip_cuid_493e21fc550f7d50,@object ; @__hip_cuid_493e21fc550f7d50
	.section	.bss,"aw",@nobits
	.globl	__hip_cuid_493e21fc550f7d50
__hip_cuid_493e21fc550f7d50:
	.byte	0                               ; 0x0
	.size	__hip_cuid_493e21fc550f7d50, 1

	.ident	"AMD clang version 19.0.0git (https://github.com/RadeonOpenCompute/llvm-project roc-6.4.0 25133 c7fe45cf4b819c5991fe208aaa96edf142730f1d)"
	.section	".note.GNU-stack","",@progbits
	.addrsig
	.addrsig_sym __hip_cuid_493e21fc550f7d50
	.amdgpu_metadata
---
amdhsa.kernels:
  - .args:
      - .actual_access:  read_only
        .address_space:  global
        .offset:         0
        .size:           8
        .value_kind:     global_buffer
      - .actual_access:  read_only
        .address_space:  global
        .offset:         8
        .size:           8
        .value_kind:     global_buffer
      - .actual_access:  read_only
        .address_space:  global
        .offset:         16
        .size:           8
        .value_kind:     global_buffer
      - .actual_access:  read_only
        .address_space:  global
        .offset:         24
        .size:           8
        .value_kind:     global_buffer
      - .actual_access:  read_only
        .address_space:  global
        .offset:         32
        .size:           8
        .value_kind:     global_buffer
      - .offset:         40
        .size:           8
        .value_kind:     by_value
      - .address_space:  global
        .offset:         48
        .size:           8
        .value_kind:     global_buffer
      - .address_space:  global
        .offset:         56
        .size:           8
        .value_kind:     global_buffer
      - .address_space:  global
        .offset:         64
        .size:           8
        .value_kind:     global_buffer
      - .address_space:  global
        .offset:         72
        .size:           8
        .value_kind:     global_buffer
      - .offset:         80
        .size:           4
        .value_kind:     by_value
      - .address_space:  global
        .offset:         88
        .size:           8
        .value_kind:     global_buffer
      - .address_space:  global
        .offset:         96
        .size:           8
        .value_kind:     global_buffer
    .group_segment_fixed_size: 61440
    .kernarg_segment_align: 8
    .kernarg_segment_size: 104
    .language:       OpenCL C
    .language_version:
      - 2
      - 0
    .max_flat_workgroup_size: 128
    .name:           bluestein_single_fwd_len3840_dim1_dp_op_CI_CI
    .private_segment_fixed_size: 2076
    .sgpr_count:     33
    .sgpr_spill_count: 0
    .symbol:         bluestein_single_fwd_len3840_dim1_dp_op_CI_CI.kd
    .uniform_work_group_size: 1
    .uses_dynamic_stack: false
    .vgpr_count:     256
    .vgpr_spill_count: 518
    .wavefront_size: 32
    .workgroup_processor_mode: 1
amdhsa.target:   amdgcn-amd-amdhsa--gfx1201
amdhsa.version:
  - 1
  - 2
...

	.end_amdgpu_metadata
